;; amdgpu-corpus repo=ROCm/rocFFT kind=compiled arch=gfx906 opt=O3
	.text
	.amdgcn_target "amdgcn-amd-amdhsa--gfx906"
	.amdhsa_code_object_version 6
	.protected	fft_rtc_back_len374_factors_17_2_11_wgs_238_tpt_34_halfLds_half_op_CI_CI_unitstride_sbrr_R2C_dirReg ; -- Begin function fft_rtc_back_len374_factors_17_2_11_wgs_238_tpt_34_halfLds_half_op_CI_CI_unitstride_sbrr_R2C_dirReg
	.globl	fft_rtc_back_len374_factors_17_2_11_wgs_238_tpt_34_halfLds_half_op_CI_CI_unitstride_sbrr_R2C_dirReg
	.p2align	8
	.type	fft_rtc_back_len374_factors_17_2_11_wgs_238_tpt_34_halfLds_half_op_CI_CI_unitstride_sbrr_R2C_dirReg,@function
fft_rtc_back_len374_factors_17_2_11_wgs_238_tpt_34_halfLds_half_op_CI_CI_unitstride_sbrr_R2C_dirReg: ; @fft_rtc_back_len374_factors_17_2_11_wgs_238_tpt_34_halfLds_half_op_CI_CI_unitstride_sbrr_R2C_dirReg
; %bb.0:
	v_mul_u32_u24_e32 v1, 0x788, v0
	s_load_dwordx4 s[8:11], s[4:5], 0x58
	s_load_dwordx4 s[12:15], s[4:5], 0x0
	;; [unrolled: 1-line block ×3, first 2 shown]
	v_lshrrev_b32_e32 v1, 16, v1
	v_mad_u64_u32 v[8:9], s[0:1], s6, 7, v[1:2]
	v_mov_b32_e32 v10, 0
	s_waitcnt lgkmcnt(0)
	v_cmp_lt_u64_e64 s[0:1], s[14:15], 2
	v_mov_b32_e32 v6, 0
	v_mov_b32_e32 v9, v10
	;; [unrolled: 1-line block ×5, first 2 shown]
	s_and_b64 vcc, exec, s[0:1]
	v_mov_b32_e32 v2, v7
	v_mov_b32_e32 v4, v9
	s_cbranch_vccnz .LBB0_8
; %bb.1:
	s_load_dwordx2 s[0:1], s[4:5], 0x10
	s_add_u32 s2, s18, 8
	s_addc_u32 s3, s19, 0
	s_add_u32 s6, s16, 8
	s_addc_u32 s7, s17, 0
	v_mov_b32_e32 v6, 0
	s_waitcnt lgkmcnt(0)
	s_add_u32 s20, s0, 8
	v_mov_b32_e32 v7, 0
	v_mov_b32_e32 v1, v6
	;; [unrolled: 1-line block ×3, first 2 shown]
	s_addc_u32 s21, s1, 0
	s_mov_b64 s[22:23], 1
	v_mov_b32_e32 v2, v7
	v_mov_b32_e32 v12, v8
.LBB0_2:                                ; =>This Inner Loop Header: Depth=1
	s_load_dwordx2 s[24:25], s[20:21], 0x0
                                        ; implicit-def: $vgpr3_vgpr4
	s_waitcnt lgkmcnt(0)
	v_or_b32_e32 v11, s25, v13
	v_cmp_ne_u64_e32 vcc, 0, v[10:11]
	s_and_saveexec_b64 s[0:1], vcc
	s_xor_b64 s[26:27], exec, s[0:1]
	s_cbranch_execz .LBB0_4
; %bb.3:                                ;   in Loop: Header=BB0_2 Depth=1
	v_cvt_f32_u32_e32 v3, s24
	v_cvt_f32_u32_e32 v4, s25
	s_sub_u32 s0, 0, s24
	s_subb_u32 s1, 0, s25
	v_mac_f32_e32 v3, 0x4f800000, v4
	v_rcp_f32_e32 v3, v3
	v_mul_f32_e32 v3, 0x5f7ffffc, v3
	v_mul_f32_e32 v4, 0x2f800000, v3
	v_trunc_f32_e32 v4, v4
	v_mac_f32_e32 v3, 0xcf800000, v4
	v_cvt_u32_f32_e32 v4, v4
	v_cvt_u32_f32_e32 v3, v3
	v_mul_lo_u32 v5, s0, v4
	v_mul_hi_u32 v9, s0, v3
	v_mul_lo_u32 v14, s1, v3
	v_mul_lo_u32 v11, s0, v3
	v_add_u32_e32 v5, v9, v5
	v_add_u32_e32 v5, v5, v14
	v_mul_hi_u32 v9, v3, v11
	v_mul_lo_u32 v14, v3, v5
	v_mul_hi_u32 v16, v3, v5
	v_mul_hi_u32 v15, v4, v11
	v_mul_lo_u32 v11, v4, v11
	v_mul_hi_u32 v17, v4, v5
	v_add_co_u32_e32 v9, vcc, v9, v14
	v_addc_co_u32_e32 v14, vcc, 0, v16, vcc
	v_mul_lo_u32 v5, v4, v5
	v_add_co_u32_e32 v9, vcc, v9, v11
	v_addc_co_u32_e32 v9, vcc, v14, v15, vcc
	v_addc_co_u32_e32 v11, vcc, 0, v17, vcc
	v_add_co_u32_e32 v5, vcc, v9, v5
	v_addc_co_u32_e32 v9, vcc, 0, v11, vcc
	v_add_co_u32_e32 v3, vcc, v3, v5
	v_addc_co_u32_e32 v4, vcc, v4, v9, vcc
	v_mul_lo_u32 v5, s0, v4
	v_mul_hi_u32 v9, s0, v3
	v_mul_lo_u32 v11, s1, v3
	v_mul_lo_u32 v14, s0, v3
	v_add_u32_e32 v5, v9, v5
	v_add_u32_e32 v5, v5, v11
	v_mul_lo_u32 v15, v3, v5
	v_mul_hi_u32 v16, v3, v14
	v_mul_hi_u32 v17, v3, v5
	;; [unrolled: 1-line block ×3, first 2 shown]
	v_mul_lo_u32 v14, v4, v14
	v_mul_hi_u32 v9, v4, v5
	v_add_co_u32_e32 v15, vcc, v16, v15
	v_addc_co_u32_e32 v16, vcc, 0, v17, vcc
	v_mul_lo_u32 v5, v4, v5
	v_add_co_u32_e32 v14, vcc, v15, v14
	v_addc_co_u32_e32 v11, vcc, v16, v11, vcc
	v_addc_co_u32_e32 v9, vcc, 0, v9, vcc
	v_add_co_u32_e32 v5, vcc, v11, v5
	v_addc_co_u32_e32 v9, vcc, 0, v9, vcc
	v_add_co_u32_e32 v5, vcc, v3, v5
	v_addc_co_u32_e32 v9, vcc, v4, v9, vcc
	v_mad_u64_u32 v[3:4], s[0:1], v12, v9, 0
	v_mul_hi_u32 v11, v12, v5
	v_mad_u64_u32 v[14:15], s[0:1], v13, v9, 0
	v_add_co_u32_e32 v11, vcc, v11, v3
	v_addc_co_u32_e32 v16, vcc, 0, v4, vcc
	v_mad_u64_u32 v[3:4], s[0:1], v13, v5, 0
	v_add_co_u32_e32 v3, vcc, v11, v3
	v_addc_co_u32_e32 v3, vcc, v16, v4, vcc
	v_addc_co_u32_e32 v4, vcc, 0, v15, vcc
	v_add_co_u32_e32 v5, vcc, v3, v14
	v_addc_co_u32_e32 v9, vcc, 0, v4, vcc
	v_mul_lo_u32 v11, s25, v5
	v_mul_lo_u32 v14, s24, v9
	v_mad_u64_u32 v[3:4], s[0:1], s24, v5, 0
	v_add3_u32 v4, v4, v14, v11
	v_sub_u32_e32 v11, v13, v4
	v_mov_b32_e32 v14, s25
	v_sub_co_u32_e32 v3, vcc, v12, v3
	v_subb_co_u32_e64 v11, s[0:1], v11, v14, vcc
	v_subrev_co_u32_e64 v14, s[0:1], s24, v3
	v_subbrev_co_u32_e64 v11, s[0:1], 0, v11, s[0:1]
	v_cmp_le_u32_e64 s[0:1], s25, v11
	v_cndmask_b32_e64 v15, 0, -1, s[0:1]
	v_cmp_le_u32_e64 s[0:1], s24, v14
	v_cndmask_b32_e64 v14, 0, -1, s[0:1]
	v_cmp_eq_u32_e64 s[0:1], s25, v11
	v_cndmask_b32_e64 v11, v15, v14, s[0:1]
	v_add_co_u32_e64 v14, s[0:1], 2, v5
	v_addc_co_u32_e64 v15, s[0:1], 0, v9, s[0:1]
	v_add_co_u32_e64 v16, s[0:1], 1, v5
	v_addc_co_u32_e64 v17, s[0:1], 0, v9, s[0:1]
	v_subb_co_u32_e32 v4, vcc, v13, v4, vcc
	v_cmp_ne_u32_e64 s[0:1], 0, v11
	v_cmp_le_u32_e32 vcc, s25, v4
	v_cndmask_b32_e64 v11, v17, v15, s[0:1]
	v_cndmask_b32_e64 v15, 0, -1, vcc
	v_cmp_le_u32_e32 vcc, s24, v3
	v_cndmask_b32_e64 v3, 0, -1, vcc
	v_cmp_eq_u32_e32 vcc, s25, v4
	v_cndmask_b32_e32 v3, v15, v3, vcc
	v_cmp_ne_u32_e32 vcc, 0, v3
	v_cndmask_b32_e64 v3, v16, v14, s[0:1]
	v_cndmask_b32_e32 v4, v9, v11, vcc
	v_cndmask_b32_e32 v3, v5, v3, vcc
.LBB0_4:                                ;   in Loop: Header=BB0_2 Depth=1
	s_andn2_saveexec_b64 s[0:1], s[26:27]
	s_cbranch_execz .LBB0_6
; %bb.5:                                ;   in Loop: Header=BB0_2 Depth=1
	v_cvt_f32_u32_e32 v3, s24
	s_sub_i32 s26, 0, s24
	v_rcp_iflag_f32_e32 v3, v3
	v_mul_f32_e32 v3, 0x4f7ffffe, v3
	v_cvt_u32_f32_e32 v3, v3
	v_mul_lo_u32 v4, s26, v3
	v_mul_hi_u32 v4, v3, v4
	v_add_u32_e32 v3, v3, v4
	v_mul_hi_u32 v3, v12, v3
	v_mul_lo_u32 v4, v3, s24
	v_add_u32_e32 v5, 1, v3
	v_sub_u32_e32 v4, v12, v4
	v_subrev_u32_e32 v9, s24, v4
	v_cmp_le_u32_e32 vcc, s24, v4
	v_cndmask_b32_e32 v4, v4, v9, vcc
	v_cndmask_b32_e32 v3, v3, v5, vcc
	v_add_u32_e32 v5, 1, v3
	v_cmp_le_u32_e32 vcc, s24, v4
	v_cndmask_b32_e32 v3, v3, v5, vcc
	v_mov_b32_e32 v4, v10
.LBB0_6:                                ;   in Loop: Header=BB0_2 Depth=1
	s_or_b64 exec, exec, s[0:1]
	v_mul_lo_u32 v5, v4, s24
	v_mul_lo_u32 v9, v3, s25
	v_mad_u64_u32 v[14:15], s[0:1], v3, s24, 0
	s_load_dwordx2 s[0:1], s[6:7], 0x0
	s_load_dwordx2 s[24:25], s[2:3], 0x0
	v_add3_u32 v5, v15, v9, v5
	v_sub_co_u32_e32 v9, vcc, v12, v14
	v_subb_co_u32_e32 v5, vcc, v13, v5, vcc
	s_waitcnt lgkmcnt(0)
	v_mul_lo_u32 v11, s0, v5
	v_mul_lo_u32 v12, s1, v9
	v_mad_u64_u32 v[6:7], s[0:1], s0, v9, v[6:7]
	s_add_u32 s22, s22, 1
	s_addc_u32 s23, s23, 0
	s_add_u32 s2, s2, 8
	v_mul_lo_u32 v5, s24, v5
	v_mul_lo_u32 v13, s25, v9
	v_mad_u64_u32 v[1:2], s[0:1], s24, v9, v[1:2]
	v_add3_u32 v7, v12, v7, v11
	s_addc_u32 s3, s3, 0
	v_mov_b32_e32 v11, s14
	s_add_u32 s6, s6, 8
	v_mov_b32_e32 v12, s15
	s_addc_u32 s7, s7, 0
	v_cmp_ge_u64_e32 vcc, s[22:23], v[11:12]
	s_add_u32 s20, s20, 8
	v_add3_u32 v2, v13, v2, v5
	s_addc_u32 s21, s21, 0
	s_cbranch_vccnz .LBB0_8
; %bb.7:                                ;   in Loop: Header=BB0_2 Depth=1
	v_mov_b32_e32 v13, v4
	v_mov_b32_e32 v12, v3
	s_branch .LBB0_2
.LBB0_8:
	s_mov_b32 s0, 0x24924925
	v_mul_hi_u32 v5, v8, s0
	s_load_dwordx2 s[0:1], s[4:5], 0x28
	s_lshl_b64 s[6:7], s[14:15], 3
	s_add_u32 s4, s18, s6
	v_sub_u32_e32 v9, v8, v5
	v_lshrrev_b32_e32 v9, 1, v9
	v_add_u32_e32 v5, v9, v5
	v_lshrrev_b32_e32 v5, 2, v5
	v_mul_lo_u32 v5, v5, 7
	s_waitcnt lgkmcnt(0)
	v_cmp_gt_u64_e32 vcc, s[0:1], v[3:4]
	v_cmp_le_u64_e64 s[0:1], s[0:1], v[3:4]
	s_addc_u32 s5, s19, s7
	v_sub_u32_e32 v8, v8, v5
                                        ; implicit-def: $vgpr5
	s_and_saveexec_b64 s[2:3], s[0:1]
	s_xor_b64 s[0:1], exec, s[2:3]
; %bb.9:
	s_mov_b32 s2, 0x7878788
	v_mul_hi_u32 v5, v0, s2
                                        ; implicit-def: $vgpr6_vgpr7
	v_mul_u32_u24_e32 v5, 34, v5
	v_sub_u32_e32 v5, v0, v5
                                        ; implicit-def: $vgpr0
; %bb.10:
	s_or_saveexec_b64 s[2:3], s[0:1]
	v_mul_u32_u24_e32 v8, 0x177, v8
	v_lshlrev_b32_e32 v27, 2, v8
	s_xor_b64 exec, exec, s[2:3]
	s_cbranch_execz .LBB0_12
; %bb.11:
	s_add_u32 s0, s16, s6
	s_addc_u32 s1, s17, s7
	s_load_dwordx2 s[0:1], s[0:1], 0x0
	s_mov_b32 s6, 0x7878788
	v_mul_hi_u32 v5, v0, s6
	v_lshlrev_b64 v[6:7], 2, v[6:7]
	s_waitcnt lgkmcnt(0)
	v_mul_lo_u32 v10, s1, v3
	v_mul_lo_u32 v11, s0, v4
	v_mad_u64_u32 v[8:9], s[0:1], s0, v3, 0
	v_mul_u32_u24_e32 v5, 34, v5
	v_sub_u32_e32 v5, v0, v5
	v_add3_u32 v9, v9, v11, v10
	v_lshlrev_b64 v[8:9], 2, v[8:9]
	v_mov_b32_e32 v0, s9
	v_add_co_u32_e64 v8, s[0:1], s8, v8
	v_addc_co_u32_e64 v0, s[0:1], v0, v9, s[0:1]
	v_add_co_u32_e64 v6, s[0:1], v8, v6
	v_addc_co_u32_e64 v0, s[0:1], v0, v7, s[0:1]
	v_lshlrev_b32_e32 v8, 2, v5
	v_add_co_u32_e64 v6, s[0:1], v6, v8
	v_addc_co_u32_e64 v7, s[0:1], 0, v0, s[0:1]
	global_load_dword v0, v[6:7], off
	global_load_dword v9, v[6:7], off offset:136
	global_load_dword v10, v[6:7], off offset:272
	;; [unrolled: 1-line block ×10, first 2 shown]
	v_add3_u32 v6, 0, v27, v8
	v_add_u32_e32 v7, 0x400, v6
	s_waitcnt vmcnt(9)
	ds_write2_b32 v6, v0, v9 offset1:34
	s_waitcnt vmcnt(7)
	ds_write2_b32 v6, v10, v11 offset0:68 offset1:102
	s_waitcnt vmcnt(5)
	ds_write2_b32 v6, v12, v13 offset0:136 offset1:170
	;; [unrolled: 2-line block ×4, first 2 shown]
	s_waitcnt vmcnt(0)
	ds_write_b32 v6, v18 offset:1360
.LBB0_12:
	s_or_b64 exec, exec, s[2:3]
	v_lshlrev_b32_e32 v25, 2, v5
	v_add3_u32 v26, 0, v25, v27
	v_add_u32_e32 v6, 0x400, v26
	s_waitcnt lgkmcnt(0)
	s_barrier
	ds_read2_b32 v[20:21], v26 offset0:22 offset1:44
	ds_read2_b32 v[8:9], v6 offset0:74 offset1:96
	v_add_u32_e32 v0, 0, v27
	v_add_u32_e32 v24, v0, v25
	ds_read_b32 v30, v24
	s_mov_b32 s6, 0xba62
	s_waitcnt lgkmcnt(1)
	v_pk_add_f16 v31, v20, v9 neg_lo:[0,1] neg_hi:[0,1]
	v_pk_add_f16 v34, v9, v20
	s_mov_b32 s7, 0xb8d2
	v_mul_f16_sdwa v51, v31, s6 dst_sel:DWORD dst_unused:UNUSED_PAD src0_sel:WORD_1 src1_sel:DWORD
	v_pk_add_f16 v33, v21, v8 neg_lo:[0,1] neg_hi:[0,1]
	s_movk_i32 s22, 0x3bb2
	v_fma_f16 v7, v34, s7, -v51
	v_pk_add_f16 v35, v8, v21
	s_mov_b32 s14, 0xb461
	v_mul_f16_sdwa v52, v33, s22 dst_sel:DWORD dst_unused:UNUSED_PAD src0_sel:WORD_1 src1_sel:DWORD
	s_mov_b32 s8, 0xb836
	s_waitcnt lgkmcnt(0)
	v_add_f16_e32 v7, v30, v7
	v_fma_f16 v10, v35, s14, -v52
	s_mov_b32 s16, 0xbacd
	v_mul_f16_sdwa v49, v31, s8 dst_sel:DWORD dst_unused:UNUSED_PAD src0_sel:WORD_1 src1_sel:DWORD
	v_add_f16_e32 v7, v10, v7
	v_fma_f16 v10, v34, s16, -v49
	v_add_f16_e32 v12, v30, v10
	ds_read2_b32 v[10:11], v6 offset0:30 offset1:52
	ds_read2_b32 v[22:23], v26 offset0:66 offset1:88
	s_movk_i32 s9, 0x3b29
	s_movk_i32 s15, 0x3722
	v_mul_f16_sdwa v50, v33, s9 dst_sel:DWORD dst_unused:UNUSED_PAD src0_sel:WORD_1 src1_sel:DWORD
	s_mov_b32 s27, 0xb5c8
	s_waitcnt lgkmcnt(0)
	v_pk_add_f16 v36, v22, v11 neg_lo:[0,1] neg_hi:[0,1]
	v_fma_f16 v6, v35, s15, -v50
	s_movk_i32 s18, 0x3b76
	v_pk_add_f16 v38, v11, v22
	v_mul_f16_sdwa v53, v36, s27 dst_sel:DWORD dst_unused:UNUSED_PAD src0_sel:WORD_1 src1_sel:DWORD
	s_mov_b32 s26, 0xbbf7
	v_add_f16_e32 v6, v6, v12
	v_fma_f16 v12, v38, s18, -v53
	s_movk_i32 s17, 0x2de8
	v_mul_f16_sdwa v57, v36, s26 dst_sel:DWORD dst_unused:UNUSED_PAD src0_sel:WORD_1 src1_sel:DWORD
	v_pk_add_f16 v37, v23, v10 neg_lo:[0,1] neg_hi:[0,1]
	v_add_f16_e32 v7, v12, v7
	v_fma_f16 v12, v38, s17, -v57
	v_pk_add_f16 v39, v10, v23
	v_mul_f16_sdwa v54, v37, s8 dst_sel:DWORD dst_unused:UNUSED_PAD src0_sel:WORD_1 src1_sel:DWORD
	v_add_f16_e32 v6, v12, v6
	v_fma_f16 v12, v39, s16, -v54
	v_add_u32_e32 v32, 0x200, v26
	v_add_f16_e32 v7, v12, v7
	ds_read2_b32 v[12:13], v32 offset0:114 offset1:136
	ds_read2_b32 v[14:15], v26 offset0:110 offset1:132
	s_movk_i32 s29, 0x3a62
	v_mul_f16_sdwa v59, v37, s29 dst_sel:DWORD dst_unused:UNUSED_PAD src0_sel:WORD_1 src1_sel:DWORD
	s_movk_i32 s19, 0x3bf7
	v_fma_f16 v16, v39, s7, -v59
	s_waitcnt lgkmcnt(0)
	v_pk_add_f16 v40, v14, v13 neg_lo:[0,1] neg_hi:[0,1]
	v_pk_add_f16 v42, v13, v14
	v_mul_f16_sdwa v55, v40, s19 dst_sel:DWORD dst_unused:UNUSED_PAD src0_sel:WORD_1 src1_sel:DWORD
	v_add_f16_e32 v6, v16, v6
	v_fma_f16 v16, v42, s17, -v55
	v_mul_f16_sdwa v60, v40, s27 dst_sel:DWORD dst_unused:UNUSED_PAD src0_sel:WORD_1 src1_sel:DWORD
	s_mov_b32 s28, 0xb964
	v_pk_add_f16 v41, v15, v12 neg_lo:[0,1] neg_hi:[0,1]
	v_add_f16_e32 v7, v16, v7
	v_fma_f16 v16, v42, s18, -v60
	s_movk_i32 s20, 0x39e9
	v_pk_add_f16 v43, v12, v15
	v_mul_f16_sdwa v56, v41, s28 dst_sel:DWORD dst_unused:UNUSED_PAD src0_sel:WORD_1 src1_sel:DWORD
	v_add_f16_e32 v6, v16, v6
	v_fma_f16 v16, v43, s20, -v56
	v_add_f16_e32 v7, v16, v7
	ds_read2_b32 v[18:19], v26 offset0:154 offset1:176
	ds_read2_b32 v[16:17], v26 offset0:198 offset1:220
	s_mov_b32 s21, 0xb1e1
	s_mov_b32 s24, 0xbbdd
	v_mul_f16_sdwa v62, v41, s21 dst_sel:DWORD dst_unused:UNUSED_PAD src0_sel:WORD_1 src1_sel:DWORD
	v_fma_f16 v28, v43, s24, -v62
	s_waitcnt lgkmcnt(0)
	v_pk_add_f16 v44, v18, v17 neg_lo:[0,1] neg_hi:[0,1]
	v_pk_add_f16 v46, v17, v18
	v_mul_f16_sdwa v58, v44, s21 dst_sel:DWORD dst_unused:UNUSED_PAD src0_sel:WORD_1 src1_sel:DWORD
	s_movk_i32 s23, 0x3964
	v_add_f16_e32 v6, v28, v6
	v_fma_f16 v28, v46, s24, -v58
	v_mul_f16_sdwa v63, v44, s23 dst_sel:DWORD dst_unused:UNUSED_PAD src0_sel:WORD_1 src1_sel:DWORD
	v_pk_add_f16 v45, v19, v16 neg_lo:[0,1] neg_hi:[0,1]
	v_add_f16_e32 v7, v28, v7
	v_fma_f16 v28, v46, s20, -v63
	v_pk_add_f16 v47, v16, v19
	v_mul_f16_sdwa v61, v45, s9 dst_sel:DWORD dst_unused:UNUSED_PAD src0_sel:WORD_1 src1_sel:DWORD
	s_mov_b32 s25, 0xbbb2
	v_add_f16_e32 v6, v28, v6
	v_fma_f16 v28, v47, s15, -v61
	v_mul_f16_sdwa v66, v45, s25 dst_sel:DWORD dst_unused:UNUSED_PAD src0_sel:WORD_1 src1_sel:DWORD
	v_add_f16_e32 v7, v28, v7
	v_fma_f16 v28, v47, s14, -v66
	v_mul_f16_sdwa v64, v34, s7 dst_sel:DWORD dst_unused:UNUSED_PAD src0_sel:WORD_1 src1_sel:DWORD
	v_add_f16_e32 v6, v28, v6
	v_fma_f16 v28, v31, s6, v64
	v_mul_f16_sdwa v65, v35, s14 dst_sel:DWORD dst_unused:UNUSED_PAD src0_sel:WORD_1 src1_sel:DWORD
	v_add_f16_sdwa v28, v30, v28 dst_sel:DWORD dst_unused:UNUSED_PAD src0_sel:WORD_1 src1_sel:DWORD
	v_fma_f16 v29, v33, s22, v65
	v_mul_f16_sdwa v74, v34, s16 dst_sel:DWORD dst_unused:UNUSED_PAD src0_sel:WORD_1 src1_sel:DWORD
	v_add_f16_e32 v28, v29, v28
	v_fma_f16 v29, v31, s8, v74
	v_mul_f16_sdwa v48, v35, s15 dst_sel:DWORD dst_unused:UNUSED_PAD src0_sel:WORD_1 src1_sel:DWORD
	v_add_f16_sdwa v29, v30, v29 dst_sel:DWORD dst_unused:UNUSED_PAD src0_sel:WORD_1 src1_sel:DWORD
	v_fma_f16 v67, v33, s9, v48
	v_add_f16_e32 v29, v67, v29
	v_mul_f16_sdwa v67, v38, s18 dst_sel:DWORD dst_unused:UNUSED_PAD src0_sel:WORD_1 src1_sel:DWORD
	v_fma_f16 v68, v36, s27, v67
	v_mul_f16_sdwa v73, v38, s17 dst_sel:DWORD dst_unused:UNUSED_PAD src0_sel:WORD_1 src1_sel:DWORD
	v_add_f16_e32 v28, v68, v28
	v_fma_f16 v68, v36, s26, v73
	v_add_f16_e32 v29, v68, v29
	v_mul_f16_sdwa v68, v39, s16 dst_sel:DWORD dst_unused:UNUSED_PAD src0_sel:WORD_1 src1_sel:DWORD
	v_fma_f16 v69, v37, s8, v68
	v_mul_f16_sdwa v75, v39, s7 dst_sel:DWORD dst_unused:UNUSED_PAD src0_sel:WORD_1 src1_sel:DWORD
	v_add_f16_e32 v28, v69, v28
	;; [unrolled: 6-line block ×6, first 2 shown]
	v_fma_f16 v28, v45, s25, v79
	v_add_f16_e32 v28, v28, v80
	v_cmp_gt_u32_e64 s[0:1], 22, v5
	s_barrier
	s_and_saveexec_b64 s[2:3], s[0:1]
	s_cbranch_execz .LBB0_14
; %bb.13:
	v_mul_f16_e32 v80, 0xb836, v31
	v_sub_f16_e32 v74, v74, v80
	v_mul_f16_e32 v80, 0x3b29, v33
	v_sub_f16_e32 v48, v48, v80
	v_add_f16_sdwa v74, v30, v74 dst_sel:DWORD dst_unused:UNUSED_PAD src0_sel:WORD_1 src1_sel:DWORD
	v_add_f16_e32 v48, v48, v74
	v_mul_f16_e32 v74, 0xbbf7, v36
	v_sub_f16_e32 v73, v73, v74
	v_add_f16_e32 v48, v73, v48
	v_mul_f16_e32 v73, 0x3a62, v37
	v_sub_f16_e32 v73, v75, v73
	;; [unrolled: 3-line block ×4, first 2 shown]
	v_mul_f16_e32 v75, 0xbacd, v34
	v_add_f16_e32 v48, v73, v48
	v_mul_f16_e32 v73, 0x3964, v44
	v_sub_f16_e32 v73, v78, v73
	v_mul_f16_e32 v78, 0x3722, v35
	v_add_f16_e32 v49, v75, v49
	v_mul_f16_e32 v75, 0x2de8, v38
	v_add_f16_e32 v50, v78, v50
	v_add_f16_e32 v49, v30, v49
	;; [unrolled: 1-line block ×4, first 2 shown]
	v_mul_f16_e32 v75, 0xb8d2, v39
	v_add_f16_e32 v49, v57, v49
	v_add_f16_e32 v59, v75, v59
	;; [unrolled: 1-line block ×3, first 2 shown]
	v_mul_f16_e32 v59, 0x3b76, v42
	v_mul_f16_e32 v80, 0xb8d2, v34
	v_add_f16_e32 v59, v59, v60
	v_mul_f16_e32 v76, 0xb461, v35
	v_add_f16_e32 v48, v73, v48
	v_mul_f16_e32 v73, 0xbbb2, v45
	v_add_f16_e32 v49, v59, v49
	v_mul_f16_e32 v59, 0xbbdd, v43
	v_add_f16_e32 v51, v80, v51
	v_sub_f16_e32 v73, v79, v73
	v_mul_f16_e32 v79, 0x3b76, v38
	v_add_f16_e32 v59, v59, v62
	v_add_f16_e32 v51, v30, v51
	;; [unrolled: 1-line block ×3, first 2 shown]
	v_mul_f16_e32 v78, 0xbacd, v39
	v_add_f16_e32 v49, v59, v49
	v_mul_f16_e32 v59, 0x39e9, v46
	v_add_f16_e32 v51, v52, v51
	v_add_f16_e32 v52, v79, v53
	v_mul_f16_e32 v57, 0x2de8, v42
	v_add_f16_e32 v59, v59, v63
	v_add_f16_e32 v51, v52, v51
	;; [unrolled: 1-line block ×3, first 2 shown]
	v_mul_f16_e32 v60, 0x39e9, v43
	v_add_f16_e32 v49, v59, v49
	v_mul_f16_e32 v59, 0xb461, v47
	v_add_f16_e32 v51, v52, v51
	v_add_f16_e32 v52, v57, v55
	v_mul_f16_e32 v63, 0xbbdd, v46
	v_add_f16_e32 v59, v59, v66
	v_add_f16_e32 v51, v52, v51
	v_add_f16_e32 v52, v60, v56
	v_add_f16_e32 v49, v59, v49
	v_mul_f16_e32 v59, 0x3722, v47
	v_add_f16_e32 v51, v52, v51
	v_add_f16_e32 v52, v63, v58
	v_add_f16_e32 v51, v52, v51
	v_add_f16_e32 v52, v59, v61
	v_add_f16_e32 v51, v52, v51
	v_mul_f16_sdwa v52, v34, s14 dst_sel:DWORD dst_unused:UNUSED_PAD src0_sel:WORD_1 src1_sel:DWORD
	v_fma_f16 v53, v31, s22, v52
	v_mul_f16_sdwa v54, v35, s16 dst_sel:DWORD dst_unused:UNUSED_PAD src0_sel:WORD_1 src1_sel:DWORD
	v_add_f16_sdwa v53, v30, v53 dst_sel:DWORD dst_unused:UNUSED_PAD src0_sel:WORD_1 src1_sel:DWORD
	v_fma_f16 v55, v33, s8, v54
	v_add_f16_e32 v53, v55, v53
	v_mul_f16_sdwa v55, v38, s20 dst_sel:DWORD dst_unused:UNUSED_PAD src0_sel:WORD_1 src1_sel:DWORD
	v_fma_f16 v56, v36, s28, v55
	v_add_f16_e32 v53, v56, v53
	v_mul_f16_sdwa v56, v39, s15 dst_sel:DWORD dst_unused:UNUSED_PAD src0_sel:WORD_1 src1_sel:DWORD
	v_fma_f16 v57, v37, s9, v56
	v_mul_f16_e32 v74, 0xba62, v31
	v_add_f16_e32 v53, v57, v53
	v_mul_f16_sdwa v57, v42, s24 dst_sel:DWORD dst_unused:UNUSED_PAD src0_sel:WORD_1 src1_sel:DWORD
	s_movk_i32 s31, 0x31e1
	v_mul_f16_e32 v77, 0x3bb2, v33
	v_sub_f16_e32 v64, v64, v74
	v_fma_f16 v58, v40, s31, v57
	v_add_f16_e32 v48, v73, v48
	v_mul_f16_e32 v73, 0xb5c8, v36
	v_add_f16_sdwa v64, v30, v64 dst_sel:DWORD dst_unused:UNUSED_PAD src0_sel:WORD_1 src1_sel:DWORD
	v_sub_f16_e32 v65, v65, v77
	v_add_f16_e32 v53, v58, v53
	v_mul_f16_sdwa v58, v43, s17 dst_sel:DWORD dst_unused:UNUSED_PAD src0_sel:WORD_1 src1_sel:DWORD
	v_mul_f16_e32 v50, 0xb836, v37
	v_add_f16_e32 v64, v65, v64
	v_sub_f16_e32 v65, v67, v73
	v_fma_f16 v59, v41, s26, v58
	v_mul_f16_e32 v75, 0x3bf7, v40
	v_add_f16_e32 v64, v65, v64
	v_sub_f16_e32 v50, v68, v50
	v_add_f16_e32 v53, v59, v53
	v_mul_f16_sdwa v59, v46, s18 dst_sel:DWORD dst_unused:UNUSED_PAD src0_sel:WORD_1 src1_sel:DWORD
	s_movk_i32 s0, 0x35c8
	v_mul_f16_e32 v62, 0xb964, v41
	v_add_f16_e32 v50, v50, v64
	v_sub_f16_e32 v64, v69, v75
	v_fma_f16 v60, v44, s0, v59
	v_mul_f16_e32 v66, 0xb1e1, v44
	v_add_f16_e32 v50, v64, v50
	v_sub_f16_e32 v62, v70, v62
	v_add_f16_e32 v53, v60, v53
	v_mul_f16_sdwa v60, v47, s7 dst_sel:DWORD dst_unused:UNUSED_PAD src0_sel:WORD_1 src1_sel:DWORD
	v_mul_f16_e32 v74, 0x3b29, v45
	v_add_f16_e32 v50, v62, v50
	v_sub_f16_e32 v62, v71, v66
	v_fma_f16 v61, v45, s29, v60
	v_add_f16_e32 v50, v62, v50
	v_sub_f16_e32 v62, v72, v74
	v_add_f16_e32 v53, v61, v53
	v_mul_f16_sdwa v61, v31, s25 dst_sel:DWORD dst_unused:UNUSED_PAD src0_sel:WORD_1 src1_sel:DWORD
	s_movk_i32 s1, 0x3836
	v_add_f16_e32 v50, v62, v50
	v_fma_f16 v62, v34, s14, v61
	v_mul_f16_sdwa v63, v33, s1 dst_sel:DWORD dst_unused:UNUSED_PAD src0_sel:WORD_1 src1_sel:DWORD
	v_add_f16_e32 v62, v30, v62
	v_fma_f16 v64, v35, s16, v63
	v_add_f16_e32 v62, v64, v62
	v_mul_f16_sdwa v64, v36, s23 dst_sel:DWORD dst_unused:UNUSED_PAD src0_sel:WORD_1 src1_sel:DWORD
	v_fma_f16 v65, v38, s20, v64
	s_mov_b32 s30, 0xbb29
	v_add_f16_e32 v62, v65, v62
	v_mul_f16_sdwa v65, v37, s30 dst_sel:DWORD dst_unused:UNUSED_PAD src0_sel:WORD_1 src1_sel:DWORD
	v_fma_f16 v66, v39, s15, v65
	v_add_f16_e32 v62, v66, v62
	v_mul_f16_sdwa v66, v40, s21 dst_sel:DWORD dst_unused:UNUSED_PAD src0_sel:WORD_1 src1_sel:DWORD
	v_fma_f16 v67, v42, s24, v66
	;; [unrolled: 3-line block ×6, first 2 shown]
	v_mul_f16_sdwa v72, v35, s24 dst_sel:DWORD dst_unused:UNUSED_PAD src0_sel:WORD_1 src1_sel:DWORD
	v_add_f16_sdwa v71, v30, v71 dst_sel:DWORD dst_unused:UNUSED_PAD src0_sel:WORD_1 src1_sel:DWORD
	v_fma_f16 v73, v33, s31, v72
	v_add_f16_e32 v71, v73, v71
	v_mul_f16_sdwa v73, v38, s14 dst_sel:DWORD dst_unused:UNUSED_PAD src0_sel:WORD_1 src1_sel:DWORD
	v_fma_f16 v74, v36, s25, v73
	v_add_f16_e32 v71, v74, v71
	v_mul_f16_sdwa v74, v39, s18 dst_sel:DWORD dst_unused:UNUSED_PAD src0_sel:WORD_1 src1_sel:DWORD
	;; [unrolled: 3-line block ×7, first 2 shown]
	v_pk_add_f16 v20, v30, v20
	v_pk_add_f16 v20, v20, v21
	v_fma_f16 v21, v34, s17, v79
	v_mul_f16_sdwa v80, v33, s21 dst_sel:DWORD dst_unused:UNUSED_PAD src0_sel:WORD_1 src1_sel:DWORD
	v_add_f16_e32 v21, v30, v21
	v_fma_f16 v81, v35, s24, v80
	v_pk_add_f16 v20, v20, v22
	v_mul_f16_sdwa v22, v36, s22 dst_sel:DWORD dst_unused:UNUSED_PAD src0_sel:WORD_1 src1_sel:DWORD
	v_add_f16_e32 v21, v81, v21
	v_pk_add_f16 v20, v20, v23
	v_fma_f16 v23, v38, s14, v22
	v_add_f16_e32 v21, v23, v21
	v_mul_f16_sdwa v23, v37, s0 dst_sel:DWORD dst_unused:UNUSED_PAD src0_sel:WORD_1 src1_sel:DWORD
	v_fma_f16 v81, v39, s18, v23
	v_add_f16_e32 v21, v81, v21
	v_mul_f16_sdwa v81, v40, s30 dst_sel:DWORD dst_unused:UNUSED_PAD src0_sel:WORD_1 src1_sel:DWORD
	;; [unrolled: 3-line block ×6, first 2 shown]
	v_fma_f16 v86, v31, s9, v85
	v_mul_f16_sdwa v87, v35, s7 dst_sel:DWORD dst_unused:UNUSED_PAD src0_sel:WORD_1 src1_sel:DWORD
	v_add_f16_sdwa v86, v30, v86 dst_sel:DWORD dst_unused:UNUSED_PAD src0_sel:WORD_1 src1_sel:DWORD
	v_fma_f16 v88, v33, s29, v87
	v_add_f16_e32 v86, v88, v86
	v_mul_f16_sdwa v88, v38, s24 dst_sel:DWORD dst_unused:UNUSED_PAD src0_sel:WORD_1 src1_sel:DWORD
	v_fma_f16 v89, v36, s21, v88
	v_fma_f16 v52, v31, s25, v52
	v_add_f16_e32 v86, v89, v86
	v_mul_f16_sdwa v89, v39, s14 dst_sel:DWORD dst_unused:UNUSED_PAD src0_sel:WORD_1 src1_sel:DWORD
	v_add_f16_sdwa v52, v30, v52 dst_sel:DWORD dst_unused:UNUSED_PAD src0_sel:WORD_1 src1_sel:DWORD
	v_fma_f16 v54, v33, s1, v54
	v_fma_f16 v90, v37, s25, v89
	v_add_f16_e32 v52, v54, v52
	v_fma_f16 v54, v36, s23, v55
	v_add_f16_e32 v86, v90, v86
	v_mul_f16_sdwa v90, v42, s20 dst_sel:DWORD dst_unused:UNUSED_PAD src0_sel:WORD_1 src1_sel:DWORD
	v_add_f16_e32 v52, v54, v52
	v_fma_f16 v54, v37, s30, v56
	v_fma_f16 v91, v40, s28, v90
	v_add_f16_e32 v52, v54, v52
	v_fma_f16 v54, v40, s21, v57
	v_add_f16_e32 v86, v91, v86
	v_mul_f16_sdwa v91, v43, s18 dst_sel:DWORD dst_unused:UNUSED_PAD src0_sel:WORD_1 src1_sel:DWORD
	v_add_f16_e32 v52, v54, v52
	;; [unrolled: 7-line block ×3, first 2 shown]
	v_fma_f16 v54, v45, s6, v60
	v_fma_f16 v93, v44, s19, v92
	v_add_f16_e32 v52, v54, v52
	v_fma_f16 v54, v34, s14, -v61
	v_add_f16_e32 v86, v93, v86
	v_mul_f16_sdwa v93, v47, s16 dst_sel:DWORD dst_unused:UNUSED_PAD src0_sel:WORD_1 src1_sel:DWORD
	v_add_f16_e32 v54, v30, v54
	v_fma_f16 v55, v35, s16, -v63
	v_fma_f16 v94, v45, s1, v93
	v_add_f16_e32 v54, v55, v54
	v_fma_f16 v55, v38, s20, -v64
	v_add_f16_e32 v86, v94, v86
	v_mul_f16_sdwa v94, v31, s30 dst_sel:DWORD dst_unused:UNUSED_PAD src0_sel:WORD_1 src1_sel:DWORD
	v_add_f16_e32 v54, v55, v54
	v_fma_f16 v55, v39, s15, -v65
	v_fma_f16 v95, v34, s15, v94
	v_mul_f16_sdwa v96, v33, s6 dst_sel:DWORD dst_unused:UNUSED_PAD src0_sel:WORD_1 src1_sel:DWORD
	v_add_f16_e32 v54, v55, v54
	v_fma_f16 v55, v42, s24, -v66
	v_add_f16_e32 v95, v30, v95
	v_fma_f16 v97, v35, s7, v96
	v_add_f16_e32 v54, v55, v54
	v_fma_f16 v55, v43, s17, -v67
	v_add_f16_e32 v95, v97, v95
	v_mul_f16_sdwa v97, v36, s31 dst_sel:DWORD dst_unused:UNUSED_PAD src0_sel:WORD_1 src1_sel:DWORD
	v_add_f16_e32 v54, v55, v54
	v_fma_f16 v55, v46, s18, -v68
	v_fma_f16 v98, v38, s24, v97
	v_add_f16_e32 v54, v55, v54
	v_fma_f16 v55, v47, s7, -v69
	v_add_f16_e32 v95, v98, v95
	v_mul_f16_sdwa v98, v37, s22 dst_sel:DWORD dst_unused:UNUSED_PAD src0_sel:WORD_1 src1_sel:DWORD
	v_add_f16_e32 v54, v55, v54
	v_fma_f16 v55, v31, s26, v70
	v_fma_f16 v99, v39, s14, v98
	v_add_f16_sdwa v55, v30, v55 dst_sel:DWORD dst_unused:UNUSED_PAD src0_sel:WORD_1 src1_sel:DWORD
	v_fma_f16 v56, v33, s21, v72
	v_add_f16_e32 v95, v99, v95
	v_mul_f16_sdwa v99, v40, s23 dst_sel:DWORD dst_unused:UNUSED_PAD src0_sel:WORD_1 src1_sel:DWORD
	v_add_f16_e32 v55, v56, v55
	v_fma_f16 v56, v36, s22, v73
	v_fma_f16 v100, v42, s20, v99
	v_add_f16_e32 v55, v56, v55
	v_fma_f16 v56, v37, s0, v74
	v_add_f16_e32 v95, v100, v95
	v_mul_f16_sdwa v100, v41, s27 dst_sel:DWORD dst_unused:UNUSED_PAD src0_sel:WORD_1 src1_sel:DWORD
	v_add_f16_e32 v55, v56, v55
	v_fma_f16 v56, v40, s30, v75
	v_fma_f16 v101, v43, s18, v100
	v_add_f16_e32 v55, v56, v55
	;; [unrolled: 7-line block ×3, first 2 shown]
	v_fma_f16 v56, v45, s23, v78
	v_add_f16_e32 v95, v102, v95
	v_mul_f16_sdwa v102, v45, s8 dst_sel:DWORD dst_unused:UNUSED_PAD src0_sel:WORD_1 src1_sel:DWORD
	v_add_f16_e32 v55, v56, v55
	v_fma_f16 v56, v34, s17, -v79
	v_fma_f16 v103, v47, s16, v102
	v_add_f16_e32 v56, v30, v56
	v_fma_f16 v57, v35, s24, -v80
	v_add_f16_e32 v95, v103, v95
	v_mul_f16_sdwa v103, v34, s20 dst_sel:DWORD dst_unused:UNUSED_PAD src0_sel:WORD_1 src1_sel:DWORD
	v_add_f16_e32 v56, v57, v56
	v_fma_f16 v22, v38, s14, -v22
	v_fma_f16 v104, v31, s23, v103
	v_mul_f16_sdwa v105, v35, s17 dst_sel:DWORD dst_unused:UNUSED_PAD src0_sel:WORD_1 src1_sel:DWORD
	v_add_f16_e32 v22, v22, v56
	v_fma_f16 v23, v39, s18, -v23
	v_add_f16_sdwa v104, v30, v104 dst_sel:DWORD dst_unused:UNUSED_PAD src0_sel:WORD_1 src1_sel:DWORD
	v_fma_f16 v106, v33, s19, v105
	v_add_f16_e32 v22, v23, v22
	v_fma_f16 v23, v42, s15, -v81
	v_add_f16_e32 v104, v106, v104
	v_mul_f16_sdwa v106, v38, s7 dst_sel:DWORD dst_unused:UNUSED_PAD src0_sel:WORD_1 src1_sel:DWORD
	v_add_f16_e32 v22, v23, v22
	v_fma_f16 v23, v43, s16, -v82
	v_fma_f16 v107, v36, s29, v106
	v_add_f16_e32 v22, v23, v22
	v_fma_f16 v23, v46, s7, -v83
	v_add_f16_e32 v104, v107, v104
	v_mul_f16_sdwa v107, v39, s24 dst_sel:DWORD dst_unused:UNUSED_PAD src0_sel:WORD_1 src1_sel:DWORD
	v_add_f16_e32 v22, v23, v22
	v_fma_f16 v23, v47, s20, -v84
	v_fma_f16 v108, v37, s31, v107
	v_add_f16_e32 v22, v23, v22
	v_fma_f16 v23, v31, s30, v85
	v_add_f16_e32 v104, v108, v104
	v_mul_f16_sdwa v108, v42, s16 dst_sel:DWORD dst_unused:UNUSED_PAD src0_sel:WORD_1 src1_sel:DWORD
	v_add_f16_sdwa v23, v30, v23 dst_sel:DWORD dst_unused:UNUSED_PAD src0_sel:WORD_1 src1_sel:DWORD
	v_fma_f16 v56, v33, s6, v87
	v_fma_f16 v109, v40, s8, v108
	v_add_f16_e32 v23, v56, v23
	v_fma_f16 v56, v36, s31, v88
	v_add_f16_e32 v104, v109, v104
	v_mul_f16_sdwa v109, v43, s14 dst_sel:DWORD dst_unused:UNUSED_PAD src0_sel:WORD_1 src1_sel:DWORD
	v_add_f16_e32 v23, v56, v23
	v_fma_f16 v56, v37, s22, v89
	v_fma_f16 v110, v41, s25, v109
	v_add_f16_e32 v23, v56, v23
	v_fma_f16 v56, v40, s23, v90
	v_add_f16_e32 v104, v110, v104
	v_mul_f16_sdwa v110, v46, s15 dst_sel:DWORD dst_unused:UNUSED_PAD src0_sel:WORD_1 src1_sel:DWORD
	v_add_f16_e32 v23, v56, v23
	v_fma_f16 v56, v41, s27, v91
	v_pk_add_f16 v14, v20, v14
	v_fma_f16 v111, v44, s30, v110
	v_add_f16_e32 v23, v56, v23
	v_fma_f16 v56, v44, s26, v92
	v_pk_add_f16 v14, v14, v15
	v_add_f16_e32 v104, v111, v104
	v_mul_f16_sdwa v111, v47, s18 dst_sel:DWORD dst_unused:UNUSED_PAD src0_sel:WORD_1 src1_sel:DWORD
	v_add_f16_e32 v23, v56, v23
	v_fma_f16 v56, v45, s8, v93
	v_pk_add_f16 v14, v14, v18
	v_fma_f16 v112, v45, s27, v111
	v_add_f16_e32 v23, v56, v23
	v_fma_f16 v56, v34, s15, -v94
	v_pk_add_f16 v14, v14, v19
	v_add_f16_e32 v104, v112, v104
	v_mul_f16_sdwa v112, v31, s28 dst_sel:DWORD dst_unused:UNUSED_PAD src0_sel:WORD_1 src1_sel:DWORD
	v_add_f16_e32 v56, v30, v56
	v_fma_f16 v57, v35, s7, -v96
	v_pk_add_f16 v14, v14, v16
	v_fma_f16 v113, v34, s20, v112
	v_mul_f16_sdwa v114, v33, s26 dst_sel:DWORD dst_unused:UNUSED_PAD src0_sel:WORD_1 src1_sel:DWORD
	v_add_f16_e32 v56, v57, v56
	v_fma_f16 v57, v38, s24, -v97
	v_pk_add_f16 v14, v14, v17
	v_add_f16_e32 v113, v30, v113
	v_fma_f16 v115, v35, s17, v114
	v_add_f16_e32 v56, v57, v56
	v_fma_f16 v57, v39, s14, -v98
	v_pk_add_f16 v12, v14, v12
	v_add_f16_e32 v113, v115, v113
	v_mul_f16_sdwa v115, v36, s6 dst_sel:DWORD dst_unused:UNUSED_PAD src0_sel:WORD_1 src1_sel:DWORD
	v_add_f16_e32 v56, v57, v56
	v_fma_f16 v57, v42, s20, -v99
	v_pk_add_f16 v12, v12, v13
	v_fma_f16 v116, v38, s7, v115
	v_add_f16_e32 v56, v57, v56
	v_fma_f16 v57, v43, s18, -v100
	v_pk_add_f16 v10, v12, v10
	v_add_f16_e32 v113, v116, v113
	v_mul_f16_sdwa v116, v37, s21 dst_sel:DWORD dst_unused:UNUSED_PAD src0_sel:WORD_1 src1_sel:DWORD
	v_add_f16_e32 v56, v57, v56
	v_fma_f16 v57, v46, s17, -v101
	v_fma_f16 v59, v31, s28, v103
	v_pk_add_f16 v10, v10, v11
	v_fma_f16 v117, v39, s24, v116
	v_add_f16_e32 v56, v57, v56
	v_pk_mul_f16 v57, v31, s27 op_sel_hi:[1,0]
	v_fma_f16 v58, v47, s16, -v102
	v_add_f16_sdwa v59, v30, v59 dst_sel:DWORD dst_unused:UNUSED_PAD src0_sel:WORD_1 src1_sel:DWORD
	v_fma_f16 v60, v33, s26, v105
	v_pk_add_f16 v8, v10, v8
	v_add_f16_e32 v113, v117, v113
	v_mul_f16_sdwa v117, v40, s1 dst_sel:DWORD dst_unused:UNUSED_PAD src0_sel:WORD_1 src1_sel:DWORD
	v_add_f16_e32 v56, v58, v56
	v_pk_mul_f16 v58, v33, s28 op_sel_hi:[1,0]
	v_add_f16_e32 v59, v60, v59
	v_fma_f16 v61, v36, s6, v106
	v_fma_f16 v64, v40, s1, v108
	v_pk_add_f16 v8, v8, v9
	v_pk_fma_f16 v9, v34, s18, v57 op_sel:[0,0,1] op_sel_hi:[1,0,0]
	v_pk_fma_f16 v10, v34, s18, v57 op_sel:[0,0,1] op_sel_hi:[1,0,0] neg_lo:[0,0,1] neg_hi:[0,0,1]
	s_mov_b32 s1, 0xffff
	v_add_f16_e32 v59, v61, v59
	v_fma_f16 v63, v37, s21, v107
	v_bfi_b32 v11, s1, v9, v10
	v_pk_fma_f16 v12, v35, s20, v58 op_sel:[0,0,1] op_sel_hi:[1,0,0]
	v_pk_fma_f16 v13, v35, s20, v58 op_sel:[0,0,1] op_sel_hi:[1,0,0] neg_lo:[0,0,1] neg_hi:[0,0,1]
	v_pk_mul_f16 v60, v36, s30 op_sel_hi:[1,0]
	v_add_f16_e32 v59, v63, v59
	v_pk_add_f16 v11, v30, v11
	v_bfi_b32 v14, s1, v12, v13
	v_add_f16_e32 v59, v64, v59
	v_fma_f16 v65, v41, s22, v109
	v_pk_add_f16 v11, v14, v11
	v_pk_fma_f16 v14, v38, s15, v60 op_sel:[0,0,1] op_sel_hi:[1,0,0]
	v_pk_fma_f16 v15, v38, s15, v60 op_sel:[0,0,1] op_sel_hi:[1,0,0] neg_lo:[0,0,1] neg_hi:[0,0,1]
	v_pk_mul_f16 v61, v37, s26 op_sel_hi:[1,0]
	v_add_f16_e32 v59, v65, v59
	v_fma_f16 v66, v44, s9, v110
	v_bfi_b32 v16, s1, v14, v15
	v_add_f16_e32 v59, v66, v59
	v_fma_f16 v20, v45, s0, v111
	v_pk_add_f16 v11, v16, v11
	v_pk_fma_f16 v16, v39, s17, v61 op_sel:[0,0,1] op_sel_hi:[1,0,0]
	v_pk_fma_f16 v17, v39, s17, v61 op_sel:[0,0,1] op_sel_hi:[1,0,0] neg_lo:[0,0,1] neg_hi:[0,0,1]
	v_pk_mul_f16 v63, v40, s25 op_sel_hi:[1,0]
	v_add_f16_e32 v20, v20, v59
	v_fma_f16 v59, v34, s20, -v112
	v_bfi_b32 v18, s1, v16, v17
	v_fma_f16 v118, v42, s16, v117
	v_add_f16_e32 v59, v30, v59
	v_fma_f16 v67, v35, s17, -v114
	v_pk_add_f16 v11, v18, v11
	v_pk_fma_f16 v18, v42, s14, v63 op_sel:[0,0,1] op_sel_hi:[1,0,0]
	v_pk_fma_f16 v19, v42, s14, v63 op_sel:[0,0,1] op_sel_hi:[1,0,0] neg_lo:[0,0,1] neg_hi:[0,0,1]
	v_add_f16_e32 v113, v118, v113
	v_mul_f16_sdwa v118, v41, s22 dst_sel:DWORD dst_unused:UNUSED_PAD src0_sel:WORD_1 src1_sel:DWORD
	v_pk_mul_f16 v64, v41, s6 op_sel_hi:[1,0]
	v_add_f16_e32 v59, v67, v59
	v_fma_f16 v67, v38, s7, -v115
	v_bfi_b32 v57, s1, v18, v19
	v_fma_f16 v119, v43, s14, v118
	v_add_f16_e32 v59, v67, v59
	v_fma_f16 v67, v39, s24, -v116
	v_pk_add_f16 v11, v57, v11
	v_pk_fma_f16 v57, v43, s7, v64 op_sel:[0,0,1] op_sel_hi:[1,0,0]
	v_pk_fma_f16 v58, v43, s7, v64 op_sel:[0,0,1] op_sel_hi:[1,0,0] neg_lo:[0,0,1] neg_hi:[0,0,1]
	v_add_f16_e32 v113, v119, v113
	v_mul_f16_sdwa v119, v44, s9 dst_sel:DWORD dst_unused:UNUSED_PAD src0_sel:WORD_1 src1_sel:DWORD
	;; [unrolled: 12-line block ×3, first 2 shown]
	v_pk_mul_f16 v66, v45, s21 op_sel_hi:[1,0]
	v_add_f16_e32 v59, v67, v59
	v_fma_f16 v67, v46, s15, -v119
	v_bfi_b32 v63, s1, v60, v61
	v_add_f16_e32 v59, v67, v59
	v_fma_f16 v67, v47, s18, -v120
	v_pk_add_f16 v11, v63, v11
	v_pk_fma_f16 v63, v47, s24, v66 op_sel:[0,0,1] op_sel_hi:[1,0,0]
	v_pk_fma_f16 v64, v47, s24, v66 op_sel:[0,0,1] op_sel_hi:[1,0,0] neg_lo:[0,0,1] neg_hi:[0,0,1]
	v_fma_f16 v121, v47, s18, v120
	v_add_f16_e32 v59, v67, v59
	v_mul_u32_u24_e32 v67, 0x44, v5
	v_bfi_b32 v65, s1, v63, v64
	v_add_f16_e32 v113, v121, v113
	v_add3_u32 v67, 0, v67, v27
	v_pk_add_f16 v11, v65, v11
	ds_write2_b32 v67, v8, v11 offset1:1
	v_pack_b32_f16 v8, v95, v86
	v_pack_b32_f16 v11, v113, v104
	ds_write2_b32 v67, v11, v8 offset0:2 offset1:3
	v_pack_b32_f16 v8, v62, v53
	v_pack_b32_f16 v11, v21, v71
	ds_write2_b32 v67, v11, v8 offset0:4 offset1:5
	;; [unrolled: 3-line block ×3, first 2 shown]
	v_pk_mul_f16 v8, v34, s24 op_sel_hi:[1,0]
	v_pk_fma_f16 v11, v31, s21, v8 op_sel:[0,0,1] op_sel_hi:[1,0,0]
	v_pk_mul_f16 v34, v35, s18 op_sel_hi:[1,0]
	v_pk_fma_f16 v8, v31, s21, v8 op_sel:[0,0,1] op_sel_hi:[1,0,0] neg_lo:[1,0,0] neg_hi:[1,0,0]
	v_pk_mul_f16 v38, v38, s16 op_sel_hi:[1,0]
	v_pk_add_f16 v8, v30, v8 op_sel:[1,0] op_sel_hi:[0,1]
	v_pk_fma_f16 v31, v33, s0, v34 op_sel:[0,0,1] op_sel_hi:[1,0,0] neg_lo:[1,0,0] neg_hi:[1,0,0]
	v_pk_mul_f16 v39, v39, s20 op_sel_hi:[1,0]
	v_pk_add_f16 v8, v31, v8
	v_pk_fma_f16 v31, v36, s8, v38 op_sel:[0,0,1] op_sel_hi:[1,0,0] neg_lo:[1,0,0] neg_hi:[1,0,0]
	v_pk_mul_f16 v42, v42, s7 op_sel_hi:[1,0]
	v_pk_add_f16 v8, v31, v8
	;; [unrolled: 3-line block ×4, first 2 shown]
	v_pk_fma_f16 v31, v41, s9, v43 op_sel:[0,0,1] op_sel_hi:[1,0,0] neg_lo:[1,0,0] neg_hi:[1,0,0]
	v_alignbit_b32 v21, s0, v30, 16
	v_pk_mul_f16 v47, v47, s17 op_sel_hi:[1,0]
	v_pk_add_f16 v8, v31, v8
	v_pk_fma_f16 v31, v44, s25, v46 op_sel:[0,0,1] op_sel_hi:[1,0,0] neg_lo:[1,0,0] neg_hi:[1,0,0]
	v_pk_add_f16 v21, v21, v11
	v_pk_fma_f16 v35, v33, s0, v34 op_sel:[0,0,1] op_sel_hi:[1,0,0]
	v_pk_add_f16 v8, v31, v8
	v_pk_fma_f16 v31, v45, s19, v47 op_sel:[0,0,1] op_sel_hi:[1,0,0] neg_lo:[1,0,0] neg_hi:[1,0,0]
	v_alignbit_b32 v11, s0, v11, 16
	v_pk_fma_f16 v48, v36, s8, v38 op_sel:[0,0,1] op_sel_hi:[1,0,0]
	v_pk_add_f16 v8, v31, v8
	v_pk_add_f16 v11, v30, v11
	v_alignbit_b32 v31, s0, v35, 16
	v_pk_add_f16 v21, v35, v21
	v_pk_fma_f16 v49, v37, s23, v39 op_sel:[0,0,1] op_sel_hi:[1,0,0]
	v_pk_add_f16 v11, v31, v11
	v_alignbit_b32 v31, s0, v48, 16
	v_pk_add_f16 v21, v48, v21
	v_pk_fma_f16 v50, v40, s6, v42 op_sel:[0,0,1] op_sel_hi:[1,0,0]
	;; [unrolled: 4-line block ×5, first 2 shown]
	v_pk_add_f16 v11, v31, v11
	v_alignbit_b32 v31, s0, v53, 16
	v_pk_add_f16 v21, v53, v21
	v_pk_add_f16 v11, v31, v11
	v_alignbit_b32 v31, s0, v62, 16
	v_pk_add_f16 v21, v62, v21
	v_pk_add_f16 v11, v31, v11
	v_alignbit_b32 v21, v21, v8, 16
	v_pack_b32_f16 v8, v11, v8
	s_mov_b32 s0, 0x5040100
	ds_write2_b32 v67, v8, v21 offset0:8 offset1:9
	v_perm_b32 v8, v29, v7, s0
	v_perm_b32 v11, v28, v6, s0
	ds_write2_b32 v67, v11, v8 offset0:10 offset1:11
	v_pack_b32_f16 v8, v22, v55
	v_pack_b32_f16 v11, v54, v52
	ds_write2_b32 v67, v11, v8 offset0:12 offset1:13
	v_pack_b32_f16 v8, v59, v20
	v_pack_b32_f16 v11, v56, v23
	ds_write2_b32 v67, v11, v8 offset0:14 offset1:15
	v_bfi_b32 v8, s1, v10, v9
	v_pk_add_f16 v8, v30, v8
	v_bfi_b32 v9, s1, v13, v12
	v_pk_add_f16 v8, v9, v8
	;; [unrolled: 2-line block ×8, first 2 shown]
	ds_write_b32 v67, v8 offset:64
.LBB0_14:
	s_or_b64 exec, exec, s[2:3]
	s_waitcnt lgkmcnt(0)
	s_barrier
	ds_read2_b32 v[12:13], v26 offset0:187 offset1:221
	ds_read2_b32 v[8:9], v26 offset0:34 offset1:68
	;; [unrolled: 1-line block ×4, first 2 shown]
	ds_read_b32 v16, v24
	ds_read_b32 v17, v26 offset:1292
	v_cmp_gt_u32_e64 s[0:1], 17, v5
	s_and_saveexec_b64 s[2:3], s[0:1]
	s_cbranch_execz .LBB0_16
; %bb.15:
	v_add_u32_e32 v6, 0x200, v26
	ds_read2_b32 v[6:7], v6 offset0:42 offset1:229
	s_waitcnt lgkmcnt(0)
	v_lshrrev_b32_e32 v28, 16, v6
	v_lshrrev_b32_e32 v29, 16, v7
.LBB0_16:
	s_or_b64 exec, exec, s[2:3]
	v_subrev_u32_e32 v18, 17, v5
	v_cndmask_b32_e64 v19, v18, v5, s[0:1]
	v_mov_b32_e32 v20, 0
	v_lshlrev_b64 v[20:21], 2, v[19:20]
	v_mov_b32_e32 v18, s13
	v_add_co_u32_e64 v20, s[2:3], s12, v20
	v_addc_co_u32_e64 v21, s[2:3], v18, v21, s[2:3]
	v_add_u16_e32 v18, 34, v5
	s_movk_i32 s6, 0xf1
	v_mul_lo_u16_sdwa v22, v18, s6 dst_sel:DWORD dst_unused:UNUSED_PAD src0_sel:BYTE_0 src1_sel:DWORD
	v_lshrrev_b16_e32 v22, 12, v22
	v_mul_lo_u16_e32 v23, 17, v22
	v_sub_u16_e32 v23, v18, v23
	v_add_u16_e32 v18, 0x44, v5
	v_mul_lo_u16_sdwa v30, v18, s6 dst_sel:DWORD dst_unused:UNUSED_PAD src0_sel:BYTE_0 src1_sel:DWORD
	v_lshrrev_b16_e32 v30, 12, v30
	v_mul_lo_u16_e32 v31, 17, v30
	v_sub_u16_e32 v31, v18, v31
	v_add_u16_e32 v18, 0x66, v5
	v_mul_lo_u16_sdwa v32, v18, s6 dst_sel:DWORD dst_unused:UNUSED_PAD src0_sel:BYTE_0 src1_sel:DWORD
	v_lshrrev_b16_e32 v32, 12, v32
	v_mul_lo_u16_e32 v33, 17, v32
	v_sub_u16_e32 v33, v18, v33
	v_add_u16_e32 v18, 0x88, v5
	v_mul_lo_u16_sdwa v34, v18, s6 dst_sel:DWORD dst_unused:UNUSED_PAD src0_sel:BYTE_0 src1_sel:DWORD
	v_lshrrev_b16_e32 v34, 12, v34
	v_mul_lo_u16_e32 v35, 17, v34
	v_sub_u16_e32 v35, v18, v35
	v_mov_b32_e32 v18, 2
	v_lshlrev_b32_sdwa v35, v18, v35 dst_sel:DWORD dst_unused:UNUSED_PAD src0_sel:DWORD src1_sel:BYTE_0
	v_lshlrev_b32_sdwa v23, v18, v23 dst_sel:DWORD dst_unused:UNUSED_PAD src0_sel:DWORD src1_sel:BYTE_0
	;; [unrolled: 1-line block ×4, first 2 shown]
	global_load_dword v36, v35, s[12:13]
	global_load_dword v37, v33, s[12:13]
	global_load_dword v38, v31, s[12:13]
	global_load_dword v39, v23, s[12:13]
	global_load_dword v40, v[20:21], off
	v_mov_b32_e32 v20, 0x88
	v_cmp_lt_u32_e64 s[2:3], 16, v5
	v_cndmask_b32_e64 v20, 0, v20, s[2:3]
	s_movk_i32 s7, 0x88
	v_add_u32_e32 v20, 0, v20
	v_lshlrev_b32_e32 v19, 2, v19
	v_add3_u32 v19, v20, v19, v27
	v_mad_u32_u24 v20, v22, s7, 0
	v_mad_u32_u24 v21, v30, s7, 0
	;; [unrolled: 1-line block ×4, first 2 shown]
	s_load_dwordx2 s[4:5], s[4:5], 0x0
	v_add3_u32 v20, v20, v23, v27
	v_add3_u32 v21, v21, v31, v27
	;; [unrolled: 1-line block ×4, first 2 shown]
	s_mov_b32 s8, 0xffff
	s_waitcnt vmcnt(0) lgkmcnt(0)
	s_barrier
	v_pk_mul_f16 v30, v36, v17 op_sel:[0,1]
	v_pk_mul_f16 v31, v37, v15 op_sel:[0,1]
	;; [unrolled: 1-line block ×5, first 2 shown]
	v_pk_fma_f16 v35, v36, v17, v30 op_sel:[0,0,1] op_sel_hi:[1,1,0]
	v_pk_fma_f16 v17, v36, v17, v30 op_sel:[0,0,1] op_sel_hi:[1,0,0] neg_lo:[1,0,0] neg_hi:[1,0,0]
	v_pk_fma_f16 v30, v37, v15, v31 op_sel:[0,0,1] op_sel_hi:[1,1,0]
	v_pk_fma_f16 v15, v37, v15, v31 op_sel:[0,0,1] op_sel_hi:[1,0,0] neg_lo:[1,0,0] neg_hi:[1,0,0]
	v_pk_fma_f16 v31, v38, v14, v32 op_sel:[0,0,1] op_sel_hi:[1,1,0]
	v_pk_fma_f16 v14, v38, v14, v32 op_sel:[0,0,1] op_sel_hi:[1,0,0] neg_lo:[1,0,0] neg_hi:[1,0,0]
	v_pk_fma_f16 v32, v39, v13, v33 op_sel:[0,0,1] op_sel_hi:[1,1,0]
	v_pk_fma_f16 v13, v39, v13, v33 op_sel:[0,0,1] op_sel_hi:[1,0,0] neg_lo:[1,0,0] neg_hi:[1,0,0]
	v_pk_fma_f16 v33, v40, v12, v34 op_sel:[0,0,1] op_sel_hi:[1,1,0]
	v_pk_fma_f16 v12, v40, v12, v34 op_sel:[0,0,1] op_sel_hi:[1,0,0] neg_lo:[1,0,0] neg_hi:[1,0,0]
	v_bfi_b32 v12, s8, v33, v12
	v_bfi_b32 v17, s8, v35, v17
	;; [unrolled: 1-line block ×5, first 2 shown]
	v_pk_add_f16 v12, v16, v12 neg_lo:[0,1] neg_hi:[0,1]
	v_pk_add_f16 v17, v11, v17 neg_lo:[0,1] neg_hi:[0,1]
	;; [unrolled: 1-line block ×5, first 2 shown]
	v_pk_fma_f16 v16, v16, 2.0, v12 op_sel_hi:[1,0,1] neg_lo:[0,0,1] neg_hi:[0,0,1]
	v_pk_fma_f16 v11, v11, 2.0, v17 op_sel_hi:[1,0,1] neg_lo:[0,0,1] neg_hi:[0,0,1]
	;; [unrolled: 1-line block ×5, first 2 shown]
	ds_write2_b32 v19, v16, v12 offset1:17
	ds_write2_b32 v20, v8, v13 offset1:17
	;; [unrolled: 1-line block ×5, first 2 shown]
	s_and_saveexec_b64 s[2:3], s[0:1]
	s_cbranch_execz .LBB0_18
; %bb.17:
	v_add_u16_e32 v8, 0xaa, v5
	v_mul_lo_u16_sdwa v9, v8, s6 dst_sel:DWORD dst_unused:UNUSED_PAD src0_sel:BYTE_0 src1_sel:DWORD
	v_lshrrev_b16_e32 v9, 12, v9
	v_mul_lo_u16_e32 v9, 17, v9
	v_sub_u16_e32 v8, v8, v9
	v_lshlrev_b32_sdwa v8, v18, v8 dst_sel:DWORD dst_unused:UNUSED_PAD src0_sel:DWORD src1_sel:BYTE_0
	global_load_dword v9, v8, s[12:13]
	v_add3_u32 v8, 0, v8, v27
	v_add_u32_e32 v8, 0x400, v8
	s_waitcnt vmcnt(0)
	v_mul_f16_sdwa v10, v29, v9 dst_sel:DWORD dst_unused:UNUSED_PAD src0_sel:DWORD src1_sel:WORD_1
	v_mul_f16_sdwa v11, v7, v9 dst_sel:DWORD dst_unused:UNUSED_PAD src0_sel:DWORD src1_sel:WORD_1
	v_fma_f16 v7, v7, v9, v10
	v_fma_f16 v9, v29, v9, -v11
	v_sub_f16_e32 v7, v6, v7
	v_sub_f16_e32 v9, v28, v9
	v_fma_f16 v6, v6, 2.0, -v7
	v_fma_f16 v10, v28, 2.0, -v9
	v_pack_b32_f16 v7, v7, v9
	v_pack_b32_f16 v6, v6, v10
	ds_write2_b32 v8, v6, v7 offset0:84 offset1:101
.LBB0_18:
	s_or_b64 exec, exec, s[2:3]
	v_mul_u32_u24_e32 v6, 10, v5
	v_lshlrev_b32_e32 v16, 2, v6
	s_waitcnt lgkmcnt(0)
	s_barrier
	global_load_dwordx4 v[6:9], v16, s[12:13] offset:68
	global_load_dwordx4 v[10:13], v16, s[12:13] offset:84
	global_load_dwordx2 v[14:15], v16, s[12:13] offset:100
	ds_read2_b32 v[16:17], v26 offset0:34 offset1:68
	ds_read2_b32 v[18:19], v26 offset0:102 offset1:136
	ds_read_b32 v29, v24
	ds_read_u16 v30, v26 offset:682
	ds_read2_b32 v[20:21], v26 offset0:170 offset1:204
	s_waitcnt lgkmcnt(4)
	v_lshrrev_b32_e32 v33, 16, v16
	v_add_u32_e32 v22, 0x200, v26
	v_lshrrev_b32_e32 v34, 16, v17
	v_add_u32_e32 v31, 0x400, v26
	s_waitcnt lgkmcnt(0)
	v_lshrrev_b32_e32 v32, 16, v21
	ds_read2_b32 v[22:23], v22 offset0:110 offset1:144
	ds_read2_b32 v[27:28], v31 offset0:50 offset1:84
	v_lshrrev_b32_e32 v35, 16, v18
	v_lshrrev_b32_e32 v36, 16, v19
	s_movk_i32 s3, 0x3abb
	s_waitcnt lgkmcnt(1)
	v_lshrrev_b32_e32 v37, 16, v22
	v_lshrrev_b32_e32 v38, 16, v23
	s_waitcnt lgkmcnt(0)
	v_lshrrev_b32_e32 v40, 16, v28
	v_lshrrev_b32_e32 v39, 16, v27
	s_mov_b32 s2, 0xb853
	s_movk_i32 s15, 0x3853
	s_mov_b32 s7, 0xbb47
	s_movk_i32 s8, 0x36a6
	s_movk_i32 s9, 0x3b47
	s_mov_b32 s6, 0xbbeb
	s_mov_b32 s14, 0xb08e
	s_movk_i32 s16, 0x3beb
	s_mov_b32 s17, 0xba0c
	s_mov_b32 s18, 0xb93d
	;; [unrolled: 3-line block ×3, first 2 shown]
	s_movk_i32 s22, 0x3482
	s_waitcnt vmcnt(0)
	s_barrier
	v_mul_f16_sdwa v41, v6, v33 dst_sel:DWORD dst_unused:UNUSED_PAD src0_sel:WORD_1 src1_sel:DWORD
	v_mul_f16_sdwa v42, v6, v16 dst_sel:DWORD dst_unused:UNUSED_PAD src0_sel:WORD_1 src1_sel:DWORD
	;; [unrolled: 1-line block ×4, first 2 shown]
	v_mul_f16_sdwa v51, v32, v11 dst_sel:DWORD dst_unused:UNUSED_PAD src0_sel:DWORD src1_sel:WORD_1
	v_mul_f16_sdwa v52, v21, v11 dst_sel:DWORD dst_unused:UNUSED_PAD src0_sel:DWORD src1_sel:WORD_1
	v_fma_f16 v16, v6, v16, v41
	v_fma_f16 v6, v6, v33, -v42
	v_mul_f16_sdwa v45, v8, v35 dst_sel:DWORD dst_unused:UNUSED_PAD src0_sel:WORD_1 src1_sel:DWORD
	v_mul_f16_sdwa v46, v8, v18 dst_sel:DWORD dst_unused:UNUSED_PAD src0_sel:WORD_1 src1_sel:DWORD
	v_mul_f16_sdwa v49, v30, v10 dst_sel:DWORD dst_unused:UNUSED_PAD src0_sel:DWORD src1_sel:WORD_1
	v_mul_f16_sdwa v50, v10, v20 dst_sel:DWORD dst_unused:UNUSED_PAD src0_sel:WORD_1 src1_sel:DWORD
	v_fma_f16 v17, v7, v17, v43
	v_fma_f16 v7, v7, v34, -v44
	v_fma_f16 v21, v21, v11, v51
	v_fma_f16 v11, v32, v11, -v52
	v_add_f16_sdwa v32, v6, v29 dst_sel:DWORD dst_unused:UNUSED_PAD src0_sel:DWORD src1_sel:WORD_1
	v_mul_f16_sdwa v47, v9, v36 dst_sel:DWORD dst_unused:UNUSED_PAD src0_sel:WORD_1 src1_sel:DWORD
	v_mul_f16_sdwa v48, v9, v19 dst_sel:DWORD dst_unused:UNUSED_PAD src0_sel:WORD_1 src1_sel:DWORD
	v_fma_f16 v18, v8, v18, v45
	v_fma_f16 v8, v8, v35, -v46
	v_fma_f16 v20, v10, v20, v49
	v_fma_f16 v10, v30, v10, -v50
	v_add_f16_e32 v30, v16, v29
	v_add_f16_e32 v32, v32, v7
	v_fma_f16 v19, v9, v19, v47
	v_fma_f16 v9, v9, v36, -v48
	v_add_f16_e32 v30, v30, v17
	v_add_f16_e32 v32, v32, v8
	;; [unrolled: 1-line block ×4, first 2 shown]
	v_mul_f16_sdwa v53, v37, v12 dst_sel:DWORD dst_unused:UNUSED_PAD src0_sel:DWORD src1_sel:WORD_1
	v_mul_f16_sdwa v54, v22, v12 dst_sel:DWORD dst_unused:UNUSED_PAD src0_sel:DWORD src1_sel:WORD_1
	v_add_f16_e32 v30, v30, v19
	v_add_f16_e32 v32, v32, v10
	v_mul_f16_sdwa v55, v38, v13 dst_sel:DWORD dst_unused:UNUSED_PAD src0_sel:DWORD src1_sel:WORD_1
	v_mul_f16_sdwa v56, v23, v13 dst_sel:DWORD dst_unused:UNUSED_PAD src0_sel:DWORD src1_sel:WORD_1
	;; [unrolled: 1-line block ×4, first 2 shown]
	v_fma_f16 v22, v22, v12, v53
	v_fma_f16 v12, v37, v12, -v54
	v_add_f16_e32 v30, v30, v20
	v_add_f16_e32 v32, v32, v11
	v_mul_f16_sdwa v57, v39, v14 dst_sel:DWORD dst_unused:UNUSED_PAD src0_sel:DWORD src1_sel:WORD_1
	v_mul_f16_sdwa v58, v27, v14 dst_sel:DWORD dst_unused:UNUSED_PAD src0_sel:DWORD src1_sel:WORD_1
	v_fma_f16 v23, v23, v13, v55
	v_fma_f16 v13, v38, v13, -v56
	v_fma_f16 v28, v28, v15, v59
	v_fma_f16 v15, v40, v15, -v60
	v_add_f16_e32 v30, v30, v21
	v_add_f16_e32 v32, v32, v12
	v_fma_f16 v27, v27, v14, v57
	v_fma_f16 v14, v39, v14, -v58
	v_add_f16_e32 v34, v6, v15
	v_sub_f16_e32 v6, v6, v15
	v_add_f16_e32 v30, v30, v22
	v_add_f16_e32 v32, v32, v13
	;; [unrolled: 1-line block ×3, first 2 shown]
	v_mul_f16_e32 v35, 0xb853, v6
	v_add_f16_e32 v30, v30, v23
	v_add_f16_e32 v32, v32, v14
	v_sub_f16_e32 v16, v16, v28
	v_fma_f16 v36, v33, s3, v35
	v_add_f16_e32 v30, v30, v27
	v_add_f16_e32 v15, v32, v15
	v_mul_f16_e32 v32, 0x3abb, v34
	v_mul_f16_e32 v37, 0xbb47, v6
	;; [unrolled: 1-line block ×9, first 2 shown]
	v_add_f16_e32 v28, v30, v28
	v_add_f16_e32 v30, v36, v29
	v_fma_f16 v36, v16, s15, v32
	v_fma_f16 v35, v33, s3, -v35
	v_fma_f16 v32, v16, s2, v32
	v_fma_f16 v38, v33, s8, v37
	v_fma_f16 v40, v16, s9, v39
	v_fma_f16 v37, v33, s8, -v37
	v_fma_f16 v39, v16, s7, v39
	v_fma_f16 v42, v33, s14, v41
	v_fma_f16 v44, v16, s16, v43
	v_fma_f16 v41, v33, s14, -v41
	v_fma_f16 v43, v16, s6, v43
	v_fma_f16 v46, v33, s18, v45
	v_fma_f16 v48, v16, s19, v47
	v_fma_f16 v45, v33, s18, -v45
	v_fma_f16 v47, v16, s17, v47
	v_fma_f16 v49, v33, s21, v6
	v_fma_f16 v50, v16, s22, v34
	v_fma_f16 v6, v33, s21, -v6
	v_fma_f16 v16, v16, s20, v34
	v_add_f16_e32 v33, v7, v14
	v_sub_f16_e32 v7, v7, v14
	v_add_f16_sdwa v36, v36, v29 dst_sel:DWORD dst_unused:UNUSED_PAD src0_sel:DWORD src1_sel:WORD_1
	v_add_f16_e32 v35, v35, v29
	v_add_f16_sdwa v32, v32, v29 dst_sel:DWORD dst_unused:UNUSED_PAD src0_sel:DWORD src1_sel:WORD_1
	v_add_f16_e32 v38, v38, v29
	;; [unrolled: 2-line block ×10, first 2 shown]
	v_mul_f16_e32 v14, 0xbb47, v7
	v_sub_f16_e32 v17, v17, v27
	v_fma_f16 v27, v29, s8, v14
	v_add_f16_e32 v27, v27, v30
	v_mul_f16_e32 v30, 0x36a6, v33
	v_fma_f16 v34, v17, s9, v30
	v_fma_f16 v30, v17, s7, v30
	v_fma_f16 v14, v29, s8, -v14
	v_add_f16_e32 v30, v30, v32
	v_mul_f16_e32 v32, 0xba0c, v7
	v_add_f16_e32 v34, v34, v36
	v_add_f16_e32 v14, v14, v35
	v_fma_f16 v35, v29, s18, v32
	v_mul_f16_e32 v36, 0xb93d, v33
	v_fma_f16 v32, v29, s18, -v32
	v_add_f16_e32 v35, v35, v38
	v_fma_f16 v38, v17, s19, v36
	v_add_f16_e32 v32, v32, v37
	v_fma_f16 v36, v17, s17, v36
	v_mul_f16_e32 v37, 0x3482, v7
	v_add_f16_e32 v38, v38, v40
	v_add_f16_e32 v36, v36, v39
	v_fma_f16 v39, v29, s21, v37
	v_mul_f16_e32 v40, 0xbbad, v33
	v_fma_f16 v37, v29, s21, -v37
	v_add_f16_e32 v39, v39, v42
	v_fma_f16 v42, v17, s20, v40
	v_add_f16_e32 v37, v37, v41
	v_fma_f16 v40, v17, s22, v40
	v_mul_f16_e32 v41, 0x3beb, v7
	v_add_f16_e32 v42, v42, v44
	v_add_f16_e32 v40, v40, v43
	v_fma_f16 v43, v29, s14, v41
	v_mul_f16_e32 v44, 0xb08e, v33
	v_fma_f16 v41, v29, s14, -v41
	v_mul_f16_e32 v7, 0x3853, v7
	v_add_f16_e32 v43, v43, v46
	v_fma_f16 v46, v17, s6, v44
	v_add_f16_e32 v41, v41, v45
	v_fma_f16 v44, v17, s16, v44
	v_fma_f16 v45, v29, s3, v7
	v_mul_f16_e32 v33, 0x3abb, v33
	v_fma_f16 v7, v29, s3, -v7
	v_add_f16_e32 v44, v44, v47
	v_fma_f16 v47, v17, s2, v33
	v_add_f16_e32 v6, v7, v6
	v_fma_f16 v7, v17, s15, v33
	v_add_f16_e32 v17, v8, v13
	v_sub_f16_e32 v8, v8, v13
	v_add_f16_e32 v7, v7, v16
	v_add_f16_e32 v16, v18, v23
	v_mul_f16_e32 v13, 0xbbeb, v8
	v_sub_f16_e32 v18, v18, v23
	v_fma_f16 v23, v16, s14, v13
	v_add_f16_e32 v23, v23, v27
	v_mul_f16_e32 v27, 0xb08e, v17
	v_fma_f16 v13, v16, s14, -v13
	v_fma_f16 v29, v18, s16, v27
	v_add_f16_e32 v13, v13, v14
	v_fma_f16 v14, v18, s6, v27
	v_mul_f16_e32 v27, 0x3482, v8
	v_add_f16_e32 v14, v14, v30
	v_fma_f16 v30, v16, s21, v27
	v_mul_f16_e32 v33, 0xbbad, v17
	v_fma_f16 v27, v16, s21, -v27
	v_add_f16_e32 v29, v29, v34
	v_fma_f16 v34, v18, s20, v33
	v_add_f16_e32 v27, v27, v32
	v_fma_f16 v32, v18, s22, v33
	v_mul_f16_e32 v33, 0x3b47, v8
	v_add_f16_e32 v30, v30, v35
	v_fma_f16 v35, v16, s8, v33
	v_fma_f16 v33, v16, s8, -v33
	v_add_f16_e32 v32, v32, v36
	v_mul_f16_e32 v36, 0x36a6, v17
	v_add_f16_e32 v33, v33, v37
	v_mul_f16_e32 v37, 0xb853, v8
	v_add_f16_e32 v34, v34, v38
	v_add_f16_e32 v35, v35, v39
	v_fma_f16 v38, v18, s7, v36
	v_fma_f16 v36, v18, s9, v36
	v_fma_f16 v39, v16, s3, v37
	v_fma_f16 v37, v16, s3, -v37
	v_mul_f16_e32 v8, 0xba0c, v8
	v_add_f16_e32 v36, v36, v40
	v_mul_f16_e32 v40, 0x3abb, v17
	v_add_f16_e32 v37, v37, v41
	v_fma_f16 v41, v16, s18, v8
	v_mul_f16_e32 v17, 0xb93d, v17
	v_fma_f16 v8, v16, s18, -v8
	v_add_f16_e32 v6, v8, v6
	v_fma_f16 v8, v18, s17, v17
	v_add_f16_e32 v16, v9, v12
	v_sub_f16_e32 v9, v9, v12
	v_add_f16_e32 v7, v8, v7
	v_add_f16_e32 v8, v19, v22
	v_mul_f16_e32 v12, 0xba0c, v9
	v_add_f16_e32 v38, v38, v42
	v_add_f16_e32 v39, v39, v43
	v_fma_f16 v42, v18, s15, v40
	v_fma_f16 v40, v18, s2, v40
	;; [unrolled: 1-line block ×3, first 2 shown]
	v_sub_f16_e32 v17, v19, v22
	v_fma_f16 v18, v8, s18, v12
	v_mul_f16_e32 v19, 0xb93d, v16
	v_fma_f16 v12, v8, s18, -v12
	v_add_f16_e32 v12, v12, v13
	v_fma_f16 v13, v17, s17, v19
	v_add_f16_e32 v13, v13, v14
	v_mul_f16_e32 v14, 0x3beb, v9
	v_fma_f16 v22, v17, s19, v19
	v_fma_f16 v19, v8, s14, v14
	v_fma_f16 v14, v8, s14, -v14
	v_add_f16_e32 v18, v18, v23
	v_mul_f16_e32 v23, 0xb08e, v16
	v_add_f16_e32 v14, v14, v27
	v_mul_f16_e32 v27, 0xb853, v9
	v_add_f16_e32 v22, v22, v29
	v_add_f16_e32 v19, v19, v30
	v_fma_f16 v29, v17, s6, v23
	v_fma_f16 v23, v17, s16, v23
	;; [unrolled: 1-line block ×3, first 2 shown]
	v_fma_f16 v27, v8, s3, -v27
	v_add_f16_e32 v23, v23, v32
	v_mul_f16_e32 v32, 0x3abb, v16
	v_add_f16_e32 v27, v27, v33
	v_mul_f16_e32 v33, 0xb482, v9
	v_add_f16_e32 v29, v29, v34
	v_add_f16_e32 v30, v30, v35
	v_fma_f16 v34, v17, s15, v32
	v_fma_f16 v32, v17, s2, v32
	;; [unrolled: 1-line block ×3, first 2 shown]
	v_fma_f16 v33, v8, s21, -v33
	v_mul_f16_e32 v9, 0x3b47, v9
	v_add_f16_e32 v32, v32, v36
	v_mul_f16_e32 v36, 0xbbad, v16
	v_add_f16_e32 v33, v33, v37
	v_fma_f16 v37, v8, s8, v9
	v_mul_f16_e32 v16, 0x36a6, v16
	v_fma_f16 v8, v8, s8, -v9
	v_add_f16_e32 v6, v8, v6
	v_fma_f16 v8, v17, s9, v16
	v_add_f16_e32 v9, v10, v11
	v_sub_f16_e32 v10, v10, v11
	v_add_f16_e32 v7, v8, v7
	v_add_f16_e32 v8, v20, v21
	v_mul_f16_e32 v11, 0xb482, v10
	v_add_f16_e32 v34, v34, v38
	v_add_f16_e32 v35, v35, v39
	v_fma_f16 v38, v17, s22, v36
	v_fma_f16 v36, v17, s20, v36
	;; [unrolled: 1-line block ×4, first 2 shown]
	v_sub_f16_e32 v16, v20, v21
	v_add_f16_e32 v17, v17, v18
	v_mul_f16_e32 v18, 0xbbad, v9
	v_fma_f16 v11, v8, s21, -v11
	v_add_f16_e32 v11, v11, v12
	v_fma_f16 v12, v16, s20, v18
	v_add_f16_e32 v12, v12, v13
	v_mul_f16_e32 v13, 0x3853, v10
	v_fma_f16 v20, v16, s22, v18
	v_fma_f16 v18, v8, s3, v13
	v_add_f16_e32 v18, v18, v19
	v_mul_f16_e32 v19, 0x3abb, v9
	v_fma_f16 v13, v8, s3, -v13
	v_fma_f16 v21, v16, s2, v19
	v_add_f16_e32 v13, v13, v14
	v_fma_f16 v14, v16, s15, v19
	v_mul_f16_e32 v19, 0xba0c, v10
	v_add_f16_e32 v20, v20, v22
	v_fma_f16 v22, v8, s18, v19
	v_fma_f16 v19, v8, s18, -v19
	v_add_f16_e32 v14, v14, v23
	v_mul_f16_e32 v23, 0xb93d, v9
	v_add_f16_e32 v19, v19, v27
	v_mul_f16_e32 v27, 0x3b47, v10
	v_add_f16_e32 v21, v21, v29
	v_add_f16_e32 v22, v22, v30
	v_fma_f16 v29, v16, s19, v23
	v_fma_f16 v23, v16, s17, v23
	;; [unrolled: 1-line block ×3, first 2 shown]
	v_fma_f16 v27, v8, s8, -v27
	v_mul_f16_e32 v10, 0xbbeb, v10
	v_add_f16_e32 v40, v40, v44
	v_add_f16_e32 v23, v23, v32
	v_mul_f16_e32 v32, 0x36a6, v9
	v_add_f16_e32 v27, v27, v33
	v_fma_f16 v33, v8, s14, v10
	v_mul_f16_e32 v9, 0xb08e, v9
	v_fma_f16 v8, v8, s14, -v10
	v_add_f16_e32 v46, v46, v48
	v_add_f16_e32 v45, v45, v49
	;; [unrolled: 1-line block ×5, first 2 shown]
	v_fma_f16 v34, v16, s7, v32
	v_fma_f16 v32, v16, s9, v32
	v_add_f16_e32 v6, v8, v6
	v_fma_f16 v8, v16, s6, v9
	v_add_f16_e32 v42, v42, v46
	v_add_f16_e32 v41, v41, v45
	;; [unrolled: 1-line block ×9, first 2 shown]
	v_fma_f16 v35, v16, s16, v9
	v_pack_b32_f16 v8, v28, v15
	v_pack_b32_f16 v9, v17, v20
	;; [unrolled: 1-line block ×4, first 2 shown]
	v_add_f16_e32 v34, v34, v38
	v_add_f16_e32 v33, v33, v37
	;; [unrolled: 1-line block ×3, first 2 shown]
	ds_write2_b32 v26, v8, v9 offset1:34
	v_pack_b32_f16 v8, v18, v21
	v_pack_b32_f16 v9, v22, v29
	ds_write2_b32 v26, v6, v7 offset0:204 offset1:238
	v_pack_b32_f16 v6, v19, v23
	v_pack_b32_f16 v7, v13, v14
	ds_write2_b32 v26, v8, v9 offset0:68 offset1:102
	;; [unrolled: 3-line block ×3, first 2 shown]
	v_pack_b32_f16 v6, v11, v12
	ds_write2_b32 v26, v8, v9 offset0:136 offset1:170
	ds_write_b32 v26, v6 offset:1360
	s_waitcnt lgkmcnt(0)
	s_barrier
	ds_read_b32 v12, v24
	v_sub_u32_e32 v8, v0, v25
	v_cmp_ne_u32_e64 s[2:3], 0, v5
                                        ; implicit-def: $vgpr11
                                        ; implicit-def: $vgpr9
                                        ; implicit-def: $vgpr10
                                        ; implicit-def: $vgpr6_vgpr7
	s_and_saveexec_b64 s[6:7], s[2:3]
	s_xor_b64 s[6:7], exec, s[6:7]
	s_cbranch_execz .LBB0_20
; %bb.19:
	v_mov_b32_e32 v6, 0
	v_lshlrev_b64 v[9:10], 2, v[5:6]
	v_mov_b32_e32 v7, s13
	v_add_co_u32_e64 v9, s[2:3], s12, v9
	v_addc_co_u32_e64 v10, s[2:3], v7, v10, s[2:3]
	global_load_dword v7, v[9:10], off offset:1428
	ds_read_b32 v9, v8 offset:1496
	s_waitcnt lgkmcnt(0)
	v_add_f16_sdwa v10, v9, v12 dst_sel:DWORD dst_unused:UNUSED_PAD src0_sel:WORD_1 src1_sel:WORD_1
	v_sub_f16_e32 v13, v12, v9
	v_add_f16_e32 v11, v9, v12
	v_sub_f16_sdwa v9, v12, v9 dst_sel:DWORD dst_unused:UNUSED_PAD src0_sel:WORD_1 src1_sel:WORD_1
	v_mul_f16_e32 v12, 0.5, v10
	v_mul_f16_e32 v13, 0.5, v13
	;; [unrolled: 1-line block ×3, first 2 shown]
	s_waitcnt vmcnt(0)
	v_lshrrev_b32_e32 v10, 16, v7
	v_mul_f16_e32 v14, v10, v13
	v_fma_f16 v15, v12, v10, v9
	v_fma_f16 v9, v12, v10, -v9
	v_fma_f16 v16, v11, 0.5, v14
	v_fma_f16 v14, v11, 0.5, -v14
	v_fma_f16 v10, -v7, v13, v15
	v_fma_f16 v11, -v7, v13, v9
	v_fma_f16 v13, v7, v12, v16
	v_fma_f16 v9, -v7, v12, v14
	v_mov_b32_e32 v7, v6
	ds_write_b16 v24, v13
	v_mov_b32_e32 v6, v5
                                        ; implicit-def: $vgpr12
.LBB0_20:
	s_andn2_saveexec_b64 s[2:3], s[6:7]
	s_cbranch_execz .LBB0_22
; %bb.21:
	ds_read_u16 v10, v0 offset:750
	s_waitcnt lgkmcnt(1)
	v_add_f16_sdwa v11, v12, v12 dst_sel:DWORD dst_unused:UNUSED_PAD src0_sel:WORD_1 src1_sel:DWORD
	v_mov_b32_e32 v6, 0
	v_sub_f16_sdwa v9, v12, v12 dst_sel:DWORD dst_unused:UNUSED_PAD src0_sel:DWORD src1_sel:WORD_1
	v_mov_b32_e32 v7, 0
	s_waitcnt lgkmcnt(0)
	v_xor_b32_e32 v10, 0x8000, v10
	ds_write_b16 v24, v11
	ds_write_b16 v0, v10 offset:750
	v_mov_b32_e32 v10, 0
	v_mov_b32_e32 v11, 0
.LBB0_22:
	s_or_b64 exec, exec, s[2:3]
	s_add_u32 s2, s12, 0x594
	v_lshlrev_b64 v[6:7], 2, v[6:7]
	s_addc_u32 s3, s13, 0
	s_waitcnt lgkmcnt(0)
	v_mov_b32_e32 v12, s3
	v_add_co_u32_e64 v6, s[2:3], s2, v6
	v_addc_co_u32_e64 v7, s[2:3], v12, v7, s[2:3]
	global_load_dword v12, v[6:7], off offset:136
	global_load_dword v13, v[6:7], off offset:272
	;; [unrolled: 1-line block ×3, first 2 shown]
	s_mov_b32 s2, 0x5040100
	v_perm_b32 v9, v11, v9, s2
	ds_write_b16 v24, v10 offset:2
	ds_write_b32 v8, v9 offset:1496
	ds_read_b32 v9, v24 offset:136
	ds_read_b32 v10, v8 offset:1360
	global_load_dword v11, v[6:7], off offset:544
	s_mov_b32 s6, 0xffff
	s_waitcnt lgkmcnt(0)
	v_pk_add_f16 v15, v9, v10 neg_lo:[0,1] neg_hi:[0,1]
	v_pk_add_f16 v9, v9, v10
	v_bfi_b32 v10, s6, v15, v9
	v_bfi_b32 v9, s6, v9, v15
	v_pk_mul_f16 v10, v10, 0.5 op_sel_hi:[1,0]
	v_pk_mul_f16 v9, v9, 0.5 op_sel_hi:[1,0]
	s_waitcnt vmcnt(3)
	v_pk_fma_f16 v15, v12, v10, v9 op_sel:[1,0,0]
	v_pk_mul_f16 v16, v12, v10 op_sel_hi:[0,1]
	v_pk_fma_f16 v17, v12, v10, v9 op_sel:[1,0,0] neg_lo:[1,0,0] neg_hi:[1,0,0]
	v_pk_fma_f16 v9, v12, v10, v9 op_sel:[1,0,0] neg_lo:[0,0,1] neg_hi:[0,0,1]
	v_pk_add_f16 v10, v15, v16 op_sel:[0,1] op_sel_hi:[1,0]
	v_pk_add_f16 v12, v15, v16 op_sel:[0,1] op_sel_hi:[1,0] neg_lo:[0,1] neg_hi:[0,1]
	v_pk_add_f16 v15, v17, v16 op_sel:[0,1] op_sel_hi:[1,0] neg_lo:[0,1] neg_hi:[0,1]
	v_pk_add_f16 v9, v9, v16 op_sel:[0,1] op_sel_hi:[1,0] neg_lo:[0,1] neg_hi:[0,1]
	v_bfi_b32 v10, s6, v10, v12
	v_bfi_b32 v9, s6, v15, v9
	ds_write_b32 v24, v10 offset:136
	ds_write_b32 v8, v9 offset:1360
	ds_read_b32 v9, v24 offset:272
	ds_read_b32 v10, v8 offset:1224
	s_waitcnt lgkmcnt(0)
	v_pk_add_f16 v12, v9, v10 neg_lo:[0,1] neg_hi:[0,1]
	v_pk_add_f16 v9, v9, v10
	v_bfi_b32 v10, s6, v12, v9
	v_bfi_b32 v9, s6, v9, v12
	v_pk_mul_f16 v10, v10, 0.5 op_sel_hi:[1,0]
	v_pk_mul_f16 v9, v9, 0.5 op_sel_hi:[1,0]
	s_waitcnt vmcnt(2)
	v_pk_fma_f16 v12, v13, v10, v9 op_sel:[1,0,0]
	v_pk_mul_f16 v15, v13, v10 op_sel_hi:[0,1]
	v_pk_fma_f16 v16, v13, v10, v9 op_sel:[1,0,0] neg_lo:[1,0,0] neg_hi:[1,0,0]
	v_pk_fma_f16 v9, v13, v10, v9 op_sel:[1,0,0] neg_lo:[0,0,1] neg_hi:[0,0,1]
	v_pk_add_f16 v10, v12, v15 op_sel:[0,1] op_sel_hi:[1,0]
	v_pk_add_f16 v12, v12, v15 op_sel:[0,1] op_sel_hi:[1,0] neg_lo:[0,1] neg_hi:[0,1]
	v_pk_add_f16 v13, v16, v15 op_sel:[0,1] op_sel_hi:[1,0] neg_lo:[0,1] neg_hi:[0,1]
	v_pk_add_f16 v9, v9, v15 op_sel:[0,1] op_sel_hi:[1,0] neg_lo:[0,1] neg_hi:[0,1]
	v_bfi_b32 v10, s6, v10, v12
	v_bfi_b32 v9, s6, v13, v9
	ds_write_b32 v24, v10 offset:272
	ds_write_b32 v8, v9 offset:1224
	ds_read_b32 v9, v24 offset:408
	ds_read_b32 v10, v8 offset:1088
	s_waitcnt lgkmcnt(0)
	v_pk_add_f16 v12, v9, v10 neg_lo:[0,1] neg_hi:[0,1]
	v_pk_add_f16 v9, v9, v10
	v_bfi_b32 v10, s6, v12, v9
	v_bfi_b32 v9, s6, v9, v12
	v_pk_mul_f16 v10, v10, 0.5 op_sel_hi:[1,0]
	v_pk_mul_f16 v9, v9, 0.5 op_sel_hi:[1,0]
	s_waitcnt vmcnt(1)
	v_pk_fma_f16 v12, v14, v10, v9 op_sel:[1,0,0]
	v_pk_mul_f16 v13, v14, v10 op_sel_hi:[0,1]
	v_pk_fma_f16 v15, v14, v10, v9 op_sel:[1,0,0] neg_lo:[1,0,0] neg_hi:[1,0,0]
	v_pk_fma_f16 v9, v14, v10, v9 op_sel:[1,0,0] neg_lo:[0,0,1] neg_hi:[0,0,1]
	v_pk_add_f16 v10, v12, v13 op_sel:[0,1] op_sel_hi:[1,0]
	v_pk_add_f16 v12, v12, v13 op_sel:[0,1] op_sel_hi:[1,0] neg_lo:[0,1] neg_hi:[0,1]
	v_pk_add_f16 v14, v15, v13 op_sel:[0,1] op_sel_hi:[1,0] neg_lo:[0,1] neg_hi:[0,1]
	v_pk_add_f16 v9, v9, v13 op_sel:[0,1] op_sel_hi:[1,0] neg_lo:[0,1] neg_hi:[0,1]
	v_bfi_b32 v10, s6, v10, v12
	v_bfi_b32 v9, s6, v14, v9
	ds_write_b32 v24, v10 offset:408
	ds_write_b32 v8, v9 offset:1088
	ds_read_b32 v9, v24 offset:544
	ds_read_b32 v10, v8 offset:952
	s_waitcnt lgkmcnt(0)
	v_pk_add_f16 v12, v9, v10 neg_lo:[0,1] neg_hi:[0,1]
	v_pk_add_f16 v9, v9, v10
	v_bfi_b32 v10, s6, v12, v9
	v_bfi_b32 v9, s6, v9, v12
	v_pk_mul_f16 v10, v10, 0.5 op_sel_hi:[1,0]
	v_pk_mul_f16 v9, v9, 0.5 op_sel_hi:[1,0]
	s_waitcnt vmcnt(0)
	v_pk_fma_f16 v12, v11, v10, v9 op_sel:[1,0,0]
	v_pk_mul_f16 v13, v11, v10 op_sel_hi:[0,1]
	v_pk_fma_f16 v14, v11, v10, v9 op_sel:[1,0,0] neg_lo:[1,0,0] neg_hi:[1,0,0]
	v_pk_fma_f16 v9, v11, v10, v9 op_sel:[1,0,0] neg_lo:[0,0,1] neg_hi:[0,0,1]
	v_pk_add_f16 v10, v12, v13 op_sel:[0,1] op_sel_hi:[1,0]
	v_pk_add_f16 v11, v12, v13 op_sel:[0,1] op_sel_hi:[1,0] neg_lo:[0,1] neg_hi:[0,1]
	v_pk_add_f16 v12, v14, v13 op_sel:[0,1] op_sel_hi:[1,0] neg_lo:[0,1] neg_hi:[0,1]
	;; [unrolled: 1-line block ×3, first 2 shown]
	v_bfi_b32 v10, s6, v10, v11
	v_bfi_b32 v9, s6, v12, v9
	ds_write_b32 v24, v10 offset:544
	ds_write_b32 v8, v9 offset:952
	s_and_saveexec_b64 s[2:3], s[0:1]
	s_cbranch_execz .LBB0_24
; %bb.23:
	global_load_dword v6, v[6:7], off offset:680
	ds_read_b32 v7, v24 offset:680
	ds_read_b32 v9, v8 offset:816
	s_waitcnt lgkmcnt(0)
	v_pk_add_f16 v10, v7, v9 neg_lo:[0,1] neg_hi:[0,1]
	v_pk_add_f16 v7, v7, v9
	v_bfi_b32 v9, s6, v10, v7
	v_bfi_b32 v7, s6, v7, v10
	v_pk_mul_f16 v9, v9, 0.5 op_sel_hi:[1,0]
	v_pk_mul_f16 v7, v7, 0.5 op_sel_hi:[1,0]
	s_waitcnt vmcnt(0)
	v_pk_fma_f16 v10, v6, v9, v7 op_sel:[1,0,0]
	v_pk_mul_f16 v11, v6, v9 op_sel_hi:[0,1]
	v_pk_fma_f16 v12, v6, v9, v7 op_sel:[1,0,0] neg_lo:[1,0,0] neg_hi:[1,0,0]
	v_pk_fma_f16 v6, v6, v9, v7 op_sel:[1,0,0] neg_lo:[0,0,1] neg_hi:[0,0,1]
	v_pk_add_f16 v7, v10, v11 op_sel:[0,1] op_sel_hi:[1,0]
	v_pk_add_f16 v9, v10, v11 op_sel:[0,1] op_sel_hi:[1,0] neg_lo:[0,1] neg_hi:[0,1]
	v_pk_add_f16 v10, v12, v11 op_sel:[0,1] op_sel_hi:[1,0] neg_lo:[0,1] neg_hi:[0,1]
	;; [unrolled: 1-line block ×3, first 2 shown]
	v_bfi_b32 v7, s6, v7, v9
	v_bfi_b32 v6, s6, v10, v6
	ds_write_b32 v24, v7 offset:680
	ds_write_b32 v8, v6 offset:816
.LBB0_24:
	s_or_b64 exec, exec, s[2:3]
	s_waitcnt lgkmcnt(0)
	s_barrier
	s_and_saveexec_b64 s[0:1], vcc
	s_cbranch_execz .LBB0_27
; %bb.25:
	v_mul_lo_u32 v6, s5, v3
	v_mul_lo_u32 v4, s4, v4
	v_mad_u64_u32 v[7:8], s[0:1], s4, v3, 0
	v_lshl_add_u32 v3, v5, 2, v0
	v_mov_b32_e32 v0, s11
	v_add3_u32 v8, v8, v4, v6
	v_lshlrev_b64 v[7:8], 2, v[7:8]
	v_mov_b32_e32 v6, 0
	v_add_co_u32_e32 v4, vcc, s10, v7
	v_addc_co_u32_e32 v7, vcc, v0, v8, vcc
	v_lshlrev_b64 v[0:1], 2, v[1:2]
	ds_read2_b32 v[9:10], v3 offset1:34
	v_add_co_u32_e32 v0, vcc, v4, v0
	v_addc_co_u32_e32 v1, vcc, v7, v1, vcc
	v_lshlrev_b64 v[7:8], 2, v[5:6]
	v_add_u32_e32 v2, 0x400, v3
	v_add_co_u32_e32 v7, vcc, v0, v7
	v_addc_co_u32_e32 v8, vcc, v1, v8, vcc
	s_waitcnt lgkmcnt(0)
	global_store_dword v[7:8], v9, off
	v_add_u32_e32 v7, 34, v5
	v_mov_b32_e32 v8, v6
	v_lshlrev_b64 v[7:8], 2, v[7:8]
	v_add_co_u32_e32 v7, vcc, v0, v7
	v_addc_co_u32_e32 v8, vcc, v1, v8, vcc
	global_store_dword v[7:8], v10, off
	v_add_u32_e32 v7, 0x44, v5
	v_mov_b32_e32 v8, v6
	ds_read2_b32 v[9:10], v3 offset0:68 offset1:102
	v_lshlrev_b64 v[7:8], 2, v[7:8]
	v_add_co_u32_e32 v7, vcc, v0, v7
	v_addc_co_u32_e32 v8, vcc, v1, v8, vcc
	s_waitcnt lgkmcnt(0)
	global_store_dword v[7:8], v9, off
	v_add_u32_e32 v7, 0x66, v5
	v_mov_b32_e32 v8, v6
	v_lshlrev_b64 v[7:8], 2, v[7:8]
	v_add_co_u32_e32 v7, vcc, v0, v7
	v_addc_co_u32_e32 v8, vcc, v1, v8, vcc
	global_store_dword v[7:8], v10, off
	v_add_u32_e32 v7, 0x88, v5
	v_mov_b32_e32 v8, v6
	ds_read2_b32 v[9:10], v3 offset0:136 offset1:170
	v_lshlrev_b64 v[7:8], 2, v[7:8]
	;; [unrolled: 14-line block ×4, first 2 shown]
	ds_read_b32 v2, v3 offset:1360
	v_add_co_u32_e32 v7, vcc, v0, v7
	v_addc_co_u32_e32 v8, vcc, v1, v8, vcc
	s_waitcnt lgkmcnt(1)
	global_store_dword v[7:8], v9, off
	v_add_u32_e32 v7, 0x132, v5
	v_mov_b32_e32 v8, v6
	v_lshlrev_b64 v[7:8], 2, v[7:8]
	v_add_co_u32_e32 v7, vcc, v0, v7
	v_addc_co_u32_e32 v8, vcc, v1, v8, vcc
	global_store_dword v[7:8], v10, off
	v_add_u32_e32 v7, 0x154, v5
	v_mov_b32_e32 v8, v6
	v_lshlrev_b64 v[6:7], 2, v[7:8]
	v_add_co_u32_e32 v6, vcc, v0, v6
	v_addc_co_u32_e32 v7, vcc, v1, v7, vcc
	v_cmp_eq_u32_e32 vcc, 33, v5
	s_waitcnt lgkmcnt(0)
	global_store_dword v[6:7], v2, off
	s_and_b64 exec, exec, vcc
	s_cbranch_execz .LBB0_27
; %bb.26:
	ds_read_b32 v2, v3 offset:1364
	s_waitcnt lgkmcnt(0)
	global_store_dword v[0:1], v2, off offset:1496
.LBB0_27:
	s_endpgm
	.section	.rodata,"a",@progbits
	.p2align	6, 0x0
	.amdhsa_kernel fft_rtc_back_len374_factors_17_2_11_wgs_238_tpt_34_halfLds_half_op_CI_CI_unitstride_sbrr_R2C_dirReg
		.amdhsa_group_segment_fixed_size 0
		.amdhsa_private_segment_fixed_size 0
		.amdhsa_kernarg_size 104
		.amdhsa_user_sgpr_count 6
		.amdhsa_user_sgpr_private_segment_buffer 1
		.amdhsa_user_sgpr_dispatch_ptr 0
		.amdhsa_user_sgpr_queue_ptr 0
		.amdhsa_user_sgpr_kernarg_segment_ptr 1
		.amdhsa_user_sgpr_dispatch_id 0
		.amdhsa_user_sgpr_flat_scratch_init 0
		.amdhsa_user_sgpr_private_segment_size 0
		.amdhsa_uses_dynamic_stack 0
		.amdhsa_system_sgpr_private_segment_wavefront_offset 0
		.amdhsa_system_sgpr_workgroup_id_x 1
		.amdhsa_system_sgpr_workgroup_id_y 0
		.amdhsa_system_sgpr_workgroup_id_z 0
		.amdhsa_system_sgpr_workgroup_info 0
		.amdhsa_system_vgpr_workitem_id 0
		.amdhsa_next_free_vgpr 122
		.amdhsa_next_free_sgpr 32
		.amdhsa_reserve_vcc 1
		.amdhsa_reserve_flat_scratch 0
		.amdhsa_float_round_mode_32 0
		.amdhsa_float_round_mode_16_64 0
		.amdhsa_float_denorm_mode_32 3
		.amdhsa_float_denorm_mode_16_64 3
		.amdhsa_dx10_clamp 1
		.amdhsa_ieee_mode 1
		.amdhsa_fp16_overflow 0
		.amdhsa_exception_fp_ieee_invalid_op 0
		.amdhsa_exception_fp_denorm_src 0
		.amdhsa_exception_fp_ieee_div_zero 0
		.amdhsa_exception_fp_ieee_overflow 0
		.amdhsa_exception_fp_ieee_underflow 0
		.amdhsa_exception_fp_ieee_inexact 0
		.amdhsa_exception_int_div_zero 0
	.end_amdhsa_kernel
	.text
.Lfunc_end0:
	.size	fft_rtc_back_len374_factors_17_2_11_wgs_238_tpt_34_halfLds_half_op_CI_CI_unitstride_sbrr_R2C_dirReg, .Lfunc_end0-fft_rtc_back_len374_factors_17_2_11_wgs_238_tpt_34_halfLds_half_op_CI_CI_unitstride_sbrr_R2C_dirReg
                                        ; -- End function
	.section	.AMDGPU.csdata,"",@progbits
; Kernel info:
; codeLenInByte = 11788
; NumSgprs: 36
; NumVgprs: 122
; ScratchSize: 0
; MemoryBound: 0
; FloatMode: 240
; IeeeMode: 1
; LDSByteSize: 0 bytes/workgroup (compile time only)
; SGPRBlocks: 4
; VGPRBlocks: 30
; NumSGPRsForWavesPerEU: 36
; NumVGPRsForWavesPerEU: 122
; Occupancy: 2
; WaveLimiterHint : 1
; COMPUTE_PGM_RSRC2:SCRATCH_EN: 0
; COMPUTE_PGM_RSRC2:USER_SGPR: 6
; COMPUTE_PGM_RSRC2:TRAP_HANDLER: 0
; COMPUTE_PGM_RSRC2:TGID_X_EN: 1
; COMPUTE_PGM_RSRC2:TGID_Y_EN: 0
; COMPUTE_PGM_RSRC2:TGID_Z_EN: 0
; COMPUTE_PGM_RSRC2:TIDIG_COMP_CNT: 0
	.type	__hip_cuid_14dc7990b4be4c3f,@object ; @__hip_cuid_14dc7990b4be4c3f
	.section	.bss,"aw",@nobits
	.globl	__hip_cuid_14dc7990b4be4c3f
__hip_cuid_14dc7990b4be4c3f:
	.byte	0                               ; 0x0
	.size	__hip_cuid_14dc7990b4be4c3f, 1

	.ident	"AMD clang version 19.0.0git (https://github.com/RadeonOpenCompute/llvm-project roc-6.4.0 25133 c7fe45cf4b819c5991fe208aaa96edf142730f1d)"
	.section	".note.GNU-stack","",@progbits
	.addrsig
	.addrsig_sym __hip_cuid_14dc7990b4be4c3f
	.amdgpu_metadata
---
amdhsa.kernels:
  - .args:
      - .actual_access:  read_only
        .address_space:  global
        .offset:         0
        .size:           8
        .value_kind:     global_buffer
      - .offset:         8
        .size:           8
        .value_kind:     by_value
      - .actual_access:  read_only
        .address_space:  global
        .offset:         16
        .size:           8
        .value_kind:     global_buffer
      - .actual_access:  read_only
        .address_space:  global
        .offset:         24
        .size:           8
        .value_kind:     global_buffer
      - .actual_access:  read_only
        .address_space:  global
        .offset:         32
        .size:           8
        .value_kind:     global_buffer
      - .offset:         40
        .size:           8
        .value_kind:     by_value
      - .actual_access:  read_only
        .address_space:  global
        .offset:         48
        .size:           8
        .value_kind:     global_buffer
      - .actual_access:  read_only
        .address_space:  global
        .offset:         56
        .size:           8
        .value_kind:     global_buffer
      - .offset:         64
        .size:           4
        .value_kind:     by_value
      - .actual_access:  read_only
        .address_space:  global
        .offset:         72
        .size:           8
        .value_kind:     global_buffer
      - .actual_access:  read_only
        .address_space:  global
        .offset:         80
        .size:           8
        .value_kind:     global_buffer
      - .actual_access:  read_only
        .address_space:  global
        .offset:         88
        .size:           8
        .value_kind:     global_buffer
      - .actual_access:  write_only
        .address_space:  global
        .offset:         96
        .size:           8
        .value_kind:     global_buffer
    .group_segment_fixed_size: 0
    .kernarg_segment_align: 8
    .kernarg_segment_size: 104
    .language:       OpenCL C
    .language_version:
      - 2
      - 0
    .max_flat_workgroup_size: 238
    .name:           fft_rtc_back_len374_factors_17_2_11_wgs_238_tpt_34_halfLds_half_op_CI_CI_unitstride_sbrr_R2C_dirReg
    .private_segment_fixed_size: 0
    .sgpr_count:     36
    .sgpr_spill_count: 0
    .symbol:         fft_rtc_back_len374_factors_17_2_11_wgs_238_tpt_34_halfLds_half_op_CI_CI_unitstride_sbrr_R2C_dirReg.kd
    .uniform_work_group_size: 1
    .uses_dynamic_stack: false
    .vgpr_count:     122
    .vgpr_spill_count: 0
    .wavefront_size: 64
amdhsa.target:   amdgcn-amd-amdhsa--gfx906
amdhsa.version:
  - 1
  - 2
...

	.end_amdgpu_metadata
